;; amdgpu-corpus repo=ROCm/rocFFT kind=compiled arch=gfx950 opt=O3
	.text
	.amdgcn_target "amdgcn-amd-amdhsa--gfx950"
	.amdhsa_code_object_version 6
	.protected	fft_rtc_back_len2040_factors_17_4_3_10_wgs_170_tpt_170_halfLds_sp_op_CI_CI_unitstride_sbrr_R2C_dirReg ; -- Begin function fft_rtc_back_len2040_factors_17_4_3_10_wgs_170_tpt_170_halfLds_sp_op_CI_CI_unitstride_sbrr_R2C_dirReg
	.globl	fft_rtc_back_len2040_factors_17_4_3_10_wgs_170_tpt_170_halfLds_sp_op_CI_CI_unitstride_sbrr_R2C_dirReg
	.p2align	8
	.type	fft_rtc_back_len2040_factors_17_4_3_10_wgs_170_tpt_170_halfLds_sp_op_CI_CI_unitstride_sbrr_R2C_dirReg,@function
fft_rtc_back_len2040_factors_17_4_3_10_wgs_170_tpt_170_halfLds_sp_op_CI_CI_unitstride_sbrr_R2C_dirReg: ; @fft_rtc_back_len2040_factors_17_4_3_10_wgs_170_tpt_170_halfLds_sp_op_CI_CI_unitstride_sbrr_R2C_dirReg
; %bb.0:
	s_load_dwordx4 s[4:7], s[0:1], 0x58
	s_load_dwordx4 s[8:11], s[0:1], 0x0
	;; [unrolled: 1-line block ×3, first 2 shown]
	v_mul_u32_u24_e32 v1, 0x182, v0
	v_add_u32_sdwa v6, s2, v1 dst_sel:DWORD dst_unused:UNUSED_PAD src0_sel:DWORD src1_sel:WORD_1
	v_mov_b32_e32 v4, 0
	s_waitcnt lgkmcnt(0)
	v_cmp_lt_u64_e64 s[2:3], s[10:11], 2
	v_mov_b32_e32 v7, v4
	s_and_b64 vcc, exec, s[2:3]
	v_mov_b64_e32 v[2:3], 0
	s_cbranch_vccnz .LBB0_8
; %bb.1:
	s_load_dwordx2 s[2:3], s[0:1], 0x10
	s_add_u32 s16, s14, 8
	s_addc_u32 s17, s15, 0
	s_add_u32 s18, s12, 8
	s_addc_u32 s19, s13, 0
	s_waitcnt lgkmcnt(0)
	s_add_u32 s20, s2, 8
	v_mov_b64_e32 v[2:3], 0
	s_addc_u32 s21, s3, 0
	s_mov_b64 s[22:23], 1
	v_mov_b64_e32 v[36:37], v[2:3]
.LBB0_2:                                ; =>This Inner Loop Header: Depth=1
	s_load_dwordx2 s[24:25], s[20:21], 0x0
                                        ; implicit-def: $vgpr38_vgpr39
	s_waitcnt lgkmcnt(0)
	v_or_b32_e32 v5, s25, v7
	v_cmp_ne_u64_e32 vcc, 0, v[4:5]
	s_and_saveexec_b64 s[2:3], vcc
	s_xor_b64 s[26:27], exec, s[2:3]
	s_cbranch_execz .LBB0_4
; %bb.3:                                ;   in Loop: Header=BB0_2 Depth=1
	v_cvt_f32_u32_e32 v1, s24
	v_cvt_f32_u32_e32 v5, s25
	s_sub_u32 s2, 0, s24
	s_subb_u32 s3, 0, s25
	v_fmac_f32_e32 v1, 0x4f800000, v5
	v_rcp_f32_e32 v1, v1
	s_nop 0
	v_mul_f32_e32 v1, 0x5f7ffffc, v1
	v_mul_f32_e32 v5, 0x2f800000, v1
	v_trunc_f32_e32 v5, v5
	v_fmac_f32_e32 v1, 0xcf800000, v5
	v_cvt_u32_f32_e32 v5, v5
	v_cvt_u32_f32_e32 v1, v1
	v_mul_lo_u32 v8, s2, v5
	v_mul_hi_u32 v10, s2, v1
	v_mul_lo_u32 v9, s3, v1
	v_add_u32_e32 v10, v10, v8
	v_mul_lo_u32 v12, s2, v1
	v_add_u32_e32 v13, v10, v9
	v_mul_hi_u32 v8, v1, v12
	v_mul_hi_u32 v11, v1, v13
	v_mul_lo_u32 v10, v1, v13
	v_mov_b32_e32 v9, v4
	v_lshl_add_u64 v[8:9], v[8:9], 0, v[10:11]
	v_mul_hi_u32 v11, v5, v12
	v_mul_lo_u32 v12, v5, v12
	v_add_co_u32_e32 v8, vcc, v8, v12
	v_mul_hi_u32 v10, v5, v13
	s_nop 0
	v_addc_co_u32_e32 v8, vcc, v9, v11, vcc
	v_mov_b32_e32 v9, v4
	s_nop 0
	v_addc_co_u32_e32 v11, vcc, 0, v10, vcc
	v_mul_lo_u32 v10, v5, v13
	v_lshl_add_u64 v[8:9], v[8:9], 0, v[10:11]
	v_add_co_u32_e32 v1, vcc, v1, v8
	v_mul_lo_u32 v10, s2, v1
	s_nop 0
	v_addc_co_u32_e32 v5, vcc, v5, v9, vcc
	v_mul_lo_u32 v8, s2, v5
	v_mul_hi_u32 v9, s2, v1
	v_add_u32_e32 v8, v9, v8
	v_mul_lo_u32 v9, s3, v1
	v_add_u32_e32 v12, v8, v9
	v_mul_hi_u32 v14, v5, v10
	v_mul_lo_u32 v15, v5, v10
	v_mul_hi_u32 v9, v1, v12
	v_mul_lo_u32 v8, v1, v12
	v_mul_hi_u32 v10, v1, v10
	v_mov_b32_e32 v11, v4
	v_lshl_add_u64 v[8:9], v[10:11], 0, v[8:9]
	v_add_co_u32_e32 v8, vcc, v8, v15
	v_mul_hi_u32 v13, v5, v12
	s_nop 0
	v_addc_co_u32_e32 v8, vcc, v9, v14, vcc
	v_mul_lo_u32 v10, v5, v12
	s_nop 0
	v_addc_co_u32_e32 v11, vcc, 0, v13, vcc
	v_mov_b32_e32 v9, v4
	v_lshl_add_u64 v[8:9], v[8:9], 0, v[10:11]
	v_add_co_u32_e32 v1, vcc, v1, v8
	v_mul_hi_u32 v10, v6, v1
	s_nop 0
	v_addc_co_u32_e32 v5, vcc, v5, v9, vcc
	v_mad_u64_u32 v[8:9], s[2:3], v6, v5, 0
	v_mov_b32_e32 v11, v4
	v_lshl_add_u64 v[8:9], v[10:11], 0, v[8:9]
	v_mad_u64_u32 v[12:13], s[2:3], v7, v1, 0
	v_add_co_u32_e32 v1, vcc, v8, v12
	v_mad_u64_u32 v[10:11], s[2:3], v7, v5, 0
	s_nop 0
	v_addc_co_u32_e32 v8, vcc, v9, v13, vcc
	v_mov_b32_e32 v9, v4
	s_nop 0
	v_addc_co_u32_e32 v11, vcc, 0, v11, vcc
	v_lshl_add_u64 v[8:9], v[8:9], 0, v[10:11]
	v_mul_lo_u32 v1, s25, v8
	v_mul_lo_u32 v5, s24, v9
	v_mad_u64_u32 v[10:11], s[2:3], s24, v8, 0
	v_add3_u32 v1, v11, v5, v1
	v_sub_u32_e32 v5, v7, v1
	v_mov_b32_e32 v11, s25
	v_sub_co_u32_e32 v14, vcc, v6, v10
	v_lshl_add_u64 v[12:13], v[8:9], 0, 1
	s_nop 0
	v_subb_co_u32_e64 v5, s[2:3], v5, v11, vcc
	v_subrev_co_u32_e64 v10, s[2:3], s24, v14
	v_subb_co_u32_e32 v1, vcc, v7, v1, vcc
	s_nop 0
	v_subbrev_co_u32_e64 v5, s[2:3], 0, v5, s[2:3]
	v_cmp_le_u32_e64 s[2:3], s25, v5
	v_cmp_le_u32_e32 vcc, s25, v1
	s_nop 0
	v_cndmask_b32_e64 v11, 0, -1, s[2:3]
	v_cmp_le_u32_e64 s[2:3], s24, v10
	s_nop 1
	v_cndmask_b32_e64 v10, 0, -1, s[2:3]
	v_cmp_eq_u32_e64 s[2:3], s25, v5
	s_nop 1
	v_cndmask_b32_e64 v5, v11, v10, s[2:3]
	v_lshl_add_u64 v[10:11], v[8:9], 0, 2
	v_cmp_ne_u32_e64 s[2:3], 0, v5
	s_nop 1
	v_cndmask_b32_e64 v5, v13, v11, s[2:3]
	v_cndmask_b32_e64 v11, 0, -1, vcc
	v_cmp_le_u32_e32 vcc, s24, v14
	s_nop 1
	v_cndmask_b32_e64 v13, 0, -1, vcc
	v_cmp_eq_u32_e32 vcc, s25, v1
	s_nop 1
	v_cndmask_b32_e32 v1, v11, v13, vcc
	v_cmp_ne_u32_e32 vcc, 0, v1
	v_cndmask_b32_e64 v1, v12, v10, s[2:3]
	s_nop 0
	v_cndmask_b32_e32 v39, v9, v5, vcc
	v_cndmask_b32_e32 v38, v8, v1, vcc
.LBB0_4:                                ;   in Loop: Header=BB0_2 Depth=1
	s_andn2_saveexec_b64 s[2:3], s[26:27]
	s_cbranch_execz .LBB0_6
; %bb.5:                                ;   in Loop: Header=BB0_2 Depth=1
	v_cvt_f32_u32_e32 v1, s24
	s_sub_i32 s26, 0, s24
	v_mov_b32_e32 v39, v4
	v_rcp_iflag_f32_e32 v1, v1
	s_nop 0
	v_mul_f32_e32 v1, 0x4f7ffffe, v1
	v_cvt_u32_f32_e32 v1, v1
	v_mul_lo_u32 v5, s26, v1
	v_mul_hi_u32 v5, v1, v5
	v_add_u32_e32 v1, v1, v5
	v_mul_hi_u32 v1, v6, v1
	v_mul_lo_u32 v5, v1, s24
	v_sub_u32_e32 v5, v6, v5
	v_add_u32_e32 v8, 1, v1
	v_subrev_u32_e32 v9, s24, v5
	v_cmp_le_u32_e32 vcc, s24, v5
	s_nop 1
	v_cndmask_b32_e32 v5, v5, v9, vcc
	v_cndmask_b32_e32 v1, v1, v8, vcc
	v_add_u32_e32 v8, 1, v1
	v_cmp_le_u32_e32 vcc, s24, v5
	s_nop 1
	v_cndmask_b32_e32 v38, v1, v8, vcc
.LBB0_6:                                ;   in Loop: Header=BB0_2 Depth=1
	s_or_b64 exec, exec, s[2:3]
	v_mad_u64_u32 v[8:9], s[2:3], v38, s24, 0
	s_load_dwordx2 s[2:3], s[18:19], 0x0
	v_mul_lo_u32 v1, v39, s24
	v_mul_lo_u32 v5, v38, s25
	s_load_dwordx2 s[24:25], s[16:17], 0x0
	s_add_u32 s22, s22, 1
	v_add3_u32 v1, v9, v5, v1
	v_sub_co_u32_e32 v5, vcc, v6, v8
	s_addc_u32 s23, s23, 0
	s_nop 0
	v_subb_co_u32_e32 v1, vcc, v7, v1, vcc
	s_add_u32 s16, s16, 8
	s_waitcnt lgkmcnt(0)
	v_mul_lo_u32 v6, s2, v1
	v_mul_lo_u32 v7, s3, v5
	v_mad_u64_u32 v[2:3], s[2:3], s2, v5, v[2:3]
	s_addc_u32 s17, s17, 0
	v_add3_u32 v3, v7, v3, v6
	v_mul_lo_u32 v1, s24, v1
	v_mul_lo_u32 v6, s25, v5
	v_mad_u64_u32 v[36:37], s[2:3], s24, v5, v[36:37]
	s_add_u32 s18, s18, 8
	v_add3_u32 v37, v6, v37, v1
	s_addc_u32 s19, s19, 0
	v_mov_b64_e32 v[6:7], s[10:11]
	s_add_u32 s20, s20, 8
	v_cmp_ge_u64_e32 vcc, s[22:23], v[6:7]
	s_addc_u32 s21, s21, 0
	s_cbranch_vccnz .LBB0_9
; %bb.7:                                ;   in Loop: Header=BB0_2 Depth=1
	v_mov_b64_e32 v[6:7], v[38:39]
	s_branch .LBB0_2
.LBB0_8:
	v_mov_b64_e32 v[36:37], v[2:3]
	v_mov_b64_e32 v[38:39], v[6:7]
.LBB0_9:
	s_load_dwordx2 s[18:19], s[0:1], 0x28
	s_lshl_b64 s[16:17], s[10:11], 3
	s_add_u32 s2, s14, s16
	s_addc_u32 s3, s15, s17
                                        ; implicit-def: $vgpr40
	s_waitcnt lgkmcnt(0)
	v_cmp_gt_u64_e64 s[0:1], s[18:19], v[38:39]
	v_cmp_le_u64_e32 vcc, s[18:19], v[38:39]
	s_and_saveexec_b64 s[10:11], vcc
	s_xor_b64 s[10:11], exec, s[10:11]
; %bb.10:
	s_mov_b32 s14, 0x1818182
	v_mul_hi_u32 v1, v0, s14
	v_mul_u32_u24_e32 v1, 0xaa, v1
	v_sub_u32_e32 v40, v0, v1
                                        ; implicit-def: $vgpr0
                                        ; implicit-def: $vgpr2_vgpr3
; %bb.11:
	s_andn2_saveexec_b64 s[10:11], s[10:11]
	s_cbranch_execz .LBB0_13
; %bb.12:
	s_add_u32 s12, s12, s16
	s_addc_u32 s13, s13, s17
	s_load_dwordx2 s[12:13], s[12:13], 0x0
	s_mov_b32 s14, 0x1818182
	s_waitcnt lgkmcnt(0)
	v_mul_lo_u32 v1, s13, v38
	v_mul_lo_u32 v6, s12, v39
	v_mad_u64_u32 v[4:5], s[12:13], s12, v38, 0
	v_add3_u32 v5, v5, v6, v1
	v_mul_hi_u32 v1, v0, s14
	v_mul_u32_u24_e32 v1, 0xaa, v1
	v_sub_u32_e32 v40, v0, v1
	v_lshl_add_u64 v[0:1], v[4:5], 3, s[4:5]
	v_lshl_add_u64 v[0:1], v[2:3], 3, v[0:1]
	v_lshlrev_b32_e32 v2, 3, v40
	v_mov_b32_e32 v3, 0
	v_lshl_add_u64 v[0:1], v[0:1], 0, v[2:3]
	s_movk_i32 s4, 0x1000
	v_add_co_u32_e32 v12, vcc, s4, v0
	s_movk_i32 s4, 0x2000
	s_nop 0
	v_addc_co_u32_e32 v13, vcc, 0, v1, vcc
	v_add_co_u32_e32 v14, vcc, s4, v0
	global_load_dwordx2 v[4:5], v[0:1], off
	global_load_dwordx2 v[6:7], v[0:1], off offset:1360
	global_load_dwordx2 v[8:9], v[0:1], off offset:2720
	;; [unrolled: 1-line block ×3, first 2 shown]
	v_addc_co_u32_e32 v15, vcc, 0, v1, vcc
	global_load_dwordx2 v[16:17], v[12:13], off offset:1344
	global_load_dwordx2 v[18:19], v[12:13], off offset:2704
	;; [unrolled: 1-line block ×4, first 2 shown]
	v_add_co_u32_e32 v0, vcc, 0x3000, v0
	s_nop 1
	v_addc_co_u32_e32 v1, vcc, 0, v1, vcc
	global_load_dwordx2 v[12:13], v[14:15], off offset:2688
	global_load_dwordx2 v[24:25], v[14:15], off offset:4048
	global_load_dwordx2 v[26:27], v[0:1], off offset:1312
	global_load_dwordx2 v[28:29], v[0:1], off offset:2672
	v_add_u32_e32 v0, 0, v2
	v_add_u32_e32 v1, 0x800, v0
	;; [unrolled: 1-line block ×5, first 2 shown]
	s_waitcnt vmcnt(10)
	ds_write2_b64 v0, v[4:5], v[6:7] offset1:170
	s_waitcnt vmcnt(8)
	ds_write2_b64 v1, v[8:9], v[10:11] offset0:84 offset1:254
	s_waitcnt vmcnt(6)
	ds_write2_b64 v2, v[16:17], v[18:19] offset0:40 offset1:210
	;; [unrolled: 2-line block ×4, first 2 shown]
	v_add_u32_e32 v0, 0x3400, v0
	s_waitcnt vmcnt(0)
	ds_write2_b64 v0, v[26:27], v[28:29] offset0:36 offset1:206
.LBB0_13:
	s_or_b64 exec, exec, s[10:11]
	v_lshl_add_u32 v44, v40, 3, 0
	v_add_u32_e32 v0, 0x3400, v44
	s_waitcnt lgkmcnt(0)
	s_barrier
	ds_read2_b64 v[4:7], v44 offset1:120
	ds_read2_b64 v[8:11], v0 offset0:16 offset1:136
	ds_read_b64 v[84:85], v44 offset:15360
	v_add_u32_e32 v0, 0x400, v44
	ds_read2_b64 v[12:15], v0 offset0:112 offset1:232
	s_mov_b32 s4, 0x3f6eb680
	s_mov_b32 s5, 0xbeb8f4ab
	s_waitcnt lgkmcnt(1)
	v_pk_add_f32 v[52:53], v[84:85], v[6:7]
	v_pk_add_f32 v[0:1], v[6:7], v[84:85] neg_lo:[0,1] neg_hi:[0,1]
	s_mov_b32 s10, 0x3f3d2fb0
	v_add_u32_e32 v16, 0x2c00, v44
	s_waitcnt lgkmcnt(0)
	v_pk_add_f32 v[50:51], v[10:11], v[12:13]
	v_pk_add_f32 v[56:57], v[12:13], v[10:11] neg_lo:[0,1] neg_hi:[0,1]
	v_mov_b32_e32 v46, v1
	v_mov_b32_e32 v47, v53
	s_mov_b32 s26, s5
	s_mov_b32 s27, s4
	;; [unrolled: 1-line block ×3, first 2 shown]
	v_add_u32_e32 v41, 0xc00, v44
	v_pk_mul_f32 v[90:91], v[46:47], s[26:27]
	v_mov_b32_e32 v80, v52
	v_accvgpr_write_b32 a5, v1
	v_mov_b32_e32 v81, v0
	v_mov_b32_e32 v170, v57
	;; [unrolled: 1-line block ×3, first 2 shown]
	s_mov_b32 s22, s11
	s_mov_b32 s23, s10
	ds_read2_b64 v[16:19], v16 offset0:32 offset1:152
	ds_read2_b64 v[20:23], v41 offset0:96 offset1:216
	v_accvgpr_write_b32 a4, v0
	v_pk_fma_f32 v[88:89], v[80:81], s[4:5], v[90:91]
	v_pk_fma_f32 v[0:1], v[80:81], s[4:5], v[90:91] neg_lo:[0,0,1] neg_hi:[0,0,1]
	v_pk_mul_f32 v[96:97], v[170:171], s[22:23]
	v_mov_b32_e32 v82, v50
	v_mov_b32_e32 v83, v56
	;; [unrolled: 1-line block ×3, first 2 shown]
	v_pk_fma_f32 v[94:95], v[82:83], s[10:11], v[96:97]
	v_pk_fma_f32 v[2:3], v[82:83], s[10:11], v[96:97] neg_lo:[0,0,1] neg_hi:[0,0,1]
	v_pk_add_f32 v[48:49], v[8:9], v[14:15]
	v_pk_add_f32 v[58:59], v[14:15], v[8:9] neg_lo:[0,1] neg_hi:[0,1]
	v_pk_add_f32 v[0:1], v[4:5], v[0:1]
	v_mov_b32_e32 v3, v95
	s_mov_b32 s12, 0x3ee437d1
	v_pk_add_f32 v[0:1], v[2:3], v[0:1]
	v_mov_b32_e32 v2, v59
	v_mov_b32_e32 v3, v49
	s_mov_b32 s38, 0xbf65296c
	s_mov_b32 s39, s12
	;; [unrolled: 1-line block ×3, first 2 shown]
	v_pk_mul_f32 v[98:99], v[2:3], s[38:39]
	v_mov_b32_e32 v86, v48
	v_mov_b32_e32 v87, v58
	s_mov_b32 s13, s38
	s_waitcnt lgkmcnt(0)
	v_pk_add_f32 v[60:61], v[18:19], v[20:21]
	v_pk_add_f32 v[64:65], v[20:21], v[18:19] neg_lo:[0,1] neg_hi:[0,1]
	s_mov_b32 s15, 0xbf7ee86f
	v_pk_fma_f32 v[102:103], v[86:87], s[12:13], v[98:99]
	v_pk_fma_f32 v[24:25], v[86:87], s[12:13], v[98:99] neg_lo:[0,0,1] neg_hi:[0,0,1]
	v_mov_b32_e32 v168, v65
	v_mov_b32_e32 v169, v61
	s_mov_b32 s30, s15
	s_mov_b32 s31, s14
	v_mov_b32_e32 v25, v103
	v_mov_b32_e32 v92, v60
	;; [unrolled: 1-line block ×3, first 2 shown]
	v_pk_mul_f32 v[106:107], v[168:169], s[30:31]
	v_pk_add_f32 v[0:1], v[24:25], v[0:1]
	v_pk_fma_f32 v[104:105], v[92:93], s[14:15], v[106:107]
	v_pk_fma_f32 v[24:25], v[92:93], s[14:15], v[106:107] neg_lo:[0,0,1] neg_hi:[0,0,1]
	v_add_u32_e32 v45, 0x2400, v44
	v_mov_b32_e32 v25, v105
	v_pk_add_f32 v[0:1], v[24:25], v[0:1]
	v_add_u32_e32 v24, 0x1400, v44
	ds_read2_b64 v[28:31], v24 offset0:80 offset1:200
	ds_read2_b64 v[24:27], v45 offset0:48 offset1:168
	s_mov_b32 s16, 0xbe8c1d8e
	v_pk_add_f32 v[62:63], v[16:17], v[22:23]
	v_pk_add_f32 v[68:69], v[22:23], v[16:17] neg_lo:[0,1] neg_hi:[0,1]
	s_mov_b32 s17, 0xbf763a35
	v_mov_b32_e32 v202, v69
	v_mov_b32_e32 v203, v63
	s_mov_b32 s44, s17
	s_mov_b32 s45, s16
	;; [unrolled: 1-line block ×3, first 2 shown]
	v_mov_b32_e32 v100, v62
	v_mov_b32_e32 v101, v68
	v_pk_mul_f32 v[110:111], v[202:203], s[44:45]
	s_waitcnt lgkmcnt(0)
	v_pk_add_f32 v[66:67], v[26:27], v[28:29]
	v_pk_add_f32 v[72:73], v[28:29], v[26:27] neg_lo:[0,1] neg_hi:[0,1]
	s_mov_b32 s19, 0xbf4c4adb
	v_pk_fma_f32 v[112:113], v[100:101], s[16:17], v[110:111]
	v_pk_fma_f32 v[32:33], v[100:101], s[16:17], v[110:111] neg_lo:[0,0,1] neg_hi:[0,0,1]
	v_mov_b32_e32 v204, v73
	v_mov_b32_e32 v205, v67
	s_mov_b32 s42, s19
	s_mov_b32 s43, s18
	;; [unrolled: 1-line block ×3, first 2 shown]
	v_mov_b32_e32 v33, v113
	v_mov_b32_e32 v108, v66
	;; [unrolled: 1-line block ×3, first 2 shown]
	v_pk_mul_f32 v[124:125], v[204:205], s[42:43]
	v_pk_add_f32 v[70:71], v[24:25], v[30:31]
	v_pk_add_f32 v[74:75], v[30:31], v[24:25] neg_lo:[0,1] neg_hi:[0,1]
	s_mov_b32 s21, 0xbf06c442
	v_pk_add_f32 v[0:1], v[32:33], v[0:1]
	v_pk_fma_f32 v[122:123], v[108:109], s[18:19], v[124:125]
	v_pk_fma_f32 v[32:33], v[108:109], s[18:19], v[124:125] neg_lo:[0,0,1] neg_hi:[0,0,1]
	v_mov_b32_e32 v236, v75
	v_mov_b32_e32 v237, v71
	s_mov_b32 s50, s21
	s_mov_b32 s51, s20
	v_mov_b32_e32 v33, v123
	v_mov_b32_e32 v118, v70
	;; [unrolled: 1-line block ×3, first 2 shown]
	v_pk_mul_f32 v[130:131], v[236:237], s[50:51]
	v_pk_add_f32 v[0:1], v[32:33], v[0:1]
	v_pk_fma_f32 v[128:129], v[118:119], s[20:21], v[130:131]
	v_pk_fma_f32 v[32:33], v[118:119], s[20:21], v[130:131] neg_lo:[0,0,1] neg_hi:[0,0,1]
	v_pk_mul_f32 v[126:127], v[46:47], s[22:23]
	v_mov_b32_e32 v33, v129
	v_pk_add_f32 v[54:55], v[32:33], v[0:1]
	v_pk_fma_f32 v[114:115], v[80:81], s[10:11], v[126:127]
	v_pk_fma_f32 v[0:1], v[80:81], s[10:11], v[126:127] neg_lo:[0,0,1] neg_hi:[0,0,1]
	v_pk_mul_f32 v[120:121], v[170:171], s[30:31]
	v_mov_b32_e32 v1, v115
	v_pk_fma_f32 v[116:117], v[82:83], s[14:15], v[120:121]
	v_pk_fma_f32 v[32:33], v[82:83], s[14:15], v[120:121] neg_lo:[0,0,1] neg_hi:[0,0,1]
	s_mov_b32 s22, 0xbf7ba420
	v_mov_b32_e32 v33, v117
	v_pk_add_f32 v[0:1], v[4:5], v[0:1]
	v_pk_mul_f32 v[134:135], v[2:3], s[42:43]
	s_mov_b32 s23, 0xbe3c28d5
	v_pk_add_f32 v[0:1], v[32:33], v[0:1]
	v_pk_fma_f32 v[132:133], v[86:87], s[18:19], v[134:135]
	v_pk_fma_f32 v[32:33], v[86:87], s[18:19], v[134:135] neg_lo:[0,0,1] neg_hi:[0,0,1]
	s_mov_b32 s48, s23
	s_mov_b32 s49, s22
	v_mov_b32_e32 v33, v133
	v_pk_mul_f32 v[138:139], v[168:169], s[48:49]
	v_pk_add_f32 v[0:1], v[32:33], v[0:1]
	v_pk_fma_f32 v[136:137], v[92:93], s[22:23], v[138:139]
	v_pk_fma_f32 v[32:33], v[92:93], s[22:23], v[138:139] neg_lo:[0,0,1] neg_hi:[0,0,1]
	s_mov_b32 s52, 0x3f06c442
	s_mov_b32 s53, s20
	v_mov_b32_e32 v33, v137
	s_mov_b32 s40, s20
	s_mov_b32 s41, s52
	v_pk_mul_f32 v[142:143], v[202:203], s[52:53]
	s_mov_b32 s37, 0x3f763a35
	v_pk_add_f32 v[0:1], v[32:33], v[0:1]
	v_pk_fma_f32 v[140:141], v[100:101], s[40:41], v[142:143]
	v_pk_fma_f32 v[32:33], v[100:101], s[40:41], v[142:143] neg_lo:[0,0,1] neg_hi:[0,0,1]
	s_mov_b32 s54, s37
	s_mov_b32 s55, s16
	v_mov_b32_e32 v33, v141
	s_mov_b32 s36, s16
	v_pk_mul_f32 v[146:147], v[204:205], s[54:55]
	v_pk_add_f32 v[0:1], v[32:33], v[0:1]
	v_pk_fma_f32 v[144:145], v[108:109], s[36:37], v[146:147]
	v_pk_fma_f32 v[32:33], v[108:109], s[36:37], v[146:147] neg_lo:[0,0,1] neg_hi:[0,0,1]
	s_mov_b32 s35, 0x3f65296c
	v_mov_b32_e32 v33, v145
	v_pk_add_f32 v[0:1], v[32:33], v[0:1]
	v_add_u32_e32 v32, 0x1c00, v44
	ds_read2_b64 v[32:35], v32 offset0:64 offset1:184
	s_mov_b32 s24, s35
	s_mov_b32 s25, s12
	;; [unrolled: 1-line block ×3, first 2 shown]
	v_pk_mul_f32 v[148:149], v[236:237], s[24:25]
	s_waitcnt lgkmcnt(0)
	v_pk_add_f32 v[76:77], v[34:35], v[32:33]
	v_pk_fma_f32 v[150:151], v[118:119], s[34:35], v[148:149]
	v_pk_fma_f32 v[42:43], v[118:119], s[34:35], v[148:149] neg_lo:[0,0,1] neg_hi:[0,0,1]
	v_pk_add_f32 v[78:79], v[32:33], v[34:35] neg_lo:[0,1] neg_hi:[0,1]
	v_mov_b32_e32 v43, v151
	s_mov_b32 s25, 0x3eb8f4ab
	v_pk_add_f32 v[0:1], v[42:43], v[0:1]
	v_mov_b32_e32 v42, v79
	v_mov_b32_e32 v43, v77
	s_mov_b32 s56, s25
	s_mov_b32 s57, s4
	v_mov_b32_e32 v192, v76
	v_mov_b32_e32 v193, v78
	s_mov_b32 s24, s4
	v_pk_mul_f32 v[156:157], v[42:43], s[56:57]
	v_pk_mul_f32 v[160:161], v[46:47], s[38:39]
	v_pk_fma_f32 v[154:155], v[192:193], s[24:25], v[156:157]
	v_pk_fma_f32 v[152:153], v[192:193], s[24:25], v[156:157] neg_lo:[0,0,1] neg_hi:[0,0,1]
	v_pk_mul_f32 v[162:163], v[170:171], s[42:43]
	v_mov_b32_e32 v153, v155
	v_pk_add_f32 v[238:239], v[152:153], v[0:1]
	v_pk_fma_f32 v[152:153], v[80:81], s[12:13], v[160:161]
	v_pk_fma_f32 v[0:1], v[80:81], s[12:13], v[160:161] neg_lo:[0,0,1] neg_hi:[0,0,1]
	v_pk_fma_f32 v[158:159], v[82:83], s[18:19], v[162:163]
	v_mov_b32_e32 v1, v153
	v_pk_fma_f32 v[164:165], v[82:83], s[18:19], v[162:163] neg_lo:[0,0,1] neg_hi:[0,0,1]
	s_mov_b32 s28, 0x3e3c28d5
	s_mov_b32 s29, s22
	v_mov_b32_e32 v165, v159
	v_pk_add_f32 v[0:1], v[4:5], v[0:1]
	s_mov_b32 s46, s22
	s_mov_b32 s47, s28
	v_pk_mul_f32 v[172:173], v[2:3], s[28:29]
	v_pk_add_f32 v[0:1], v[164:165], v[0:1]
	v_pk_fma_f32 v[164:165], v[86:87], s[46:47], v[172:173]
	v_pk_fma_f32 v[166:167], v[86:87], s[46:47], v[172:173] neg_lo:[0,0,1] neg_hi:[0,0,1]
	v_pk_mul_f32 v[174:175], v[168:169], s[54:55]
	v_mov_b32_e32 v167, v165
	s_mov_b32 s29, 0x3f2c7751
	v_pk_add_f32 v[0:1], v[166:167], v[0:1]
	v_pk_fma_f32 v[166:167], v[92:93], s[36:37], v[174:175]
	v_pk_fma_f32 v[176:177], v[92:93], s[36:37], v[174:175] neg_lo:[0,0,1] neg_hi:[0,0,1]
	s_mov_b32 s58, s29
	s_mov_b32 s59, s10
	v_mov_b32_e32 v177, v167
	s_mov_b32 s28, s10
	v_pk_mul_f32 v[188:189], v[202:203], s[58:59]
	v_pk_add_f32 v[0:1], v[176:177], v[0:1]
	v_pk_fma_f32 v[182:183], v[100:101], s[28:29], v[188:189]
	v_pk_fma_f32 v[176:177], v[100:101], s[28:29], v[188:189] neg_lo:[0,0,1] neg_hi:[0,0,1]
	v_pk_mul_f32 v[194:195], v[204:205], s[26:27]
	v_mov_b32_e32 v177, v183
	v_pk_add_f32 v[0:1], v[176:177], v[0:1]
	v_pk_fma_f32 v[186:187], v[108:109], s[4:5], v[194:195]
	v_pk_fma_f32 v[176:177], v[108:109], s[4:5], v[194:195] neg_lo:[0,0,1] neg_hi:[0,0,1]
	v_pk_mul_f32 v[198:199], v[236:237], s[30:31]
	v_mov_b32_e32 v177, v187
	;; [unrolled: 5-line block ×4, first 2 shown]
	v_pk_add_f32 v[0:1], v[176:177], v[0:1]
	v_pk_fma_f32 v[176:177], v[80:81], s[14:15], v[180:181]
	v_accvgpr_write_b32 a0, v0
	v_accvgpr_write_b32 a1, v1
	v_pk_fma_f32 v[0:1], v[80:81], s[14:15], v[180:181] neg_lo:[0,0,1] neg_hi:[0,0,1]
	v_pk_mul_f32 v[184:185], v[170:171], s[48:49]
	v_mov_b32_e32 v1, v177
	v_pk_fma_f32 v[178:179], v[82:83], s[22:23], v[184:185]
	v_pk_fma_f32 v[206:207], v[82:83], s[22:23], v[184:185] neg_lo:[0,0,1] neg_hi:[0,0,1]
	v_pk_add_f32 v[0:1], v[4:5], v[0:1]
	v_mov_b32_e32 v207, v179
	v_pk_mul_f32 v[210:211], v[2:3], s[54:55]
	v_pk_add_f32 v[0:1], v[206:207], v[0:1]
	v_pk_fma_f32 v[206:207], v[86:87], s[36:37], v[210:211]
	v_pk_fma_f32 v[208:209], v[86:87], s[36:37], v[210:211] neg_lo:[0,0,1] neg_hi:[0,0,1]
	v_pk_mul_f32 v[214:215], v[168:169], s[56:57]
	v_mov_b32_e32 v209, v207
	v_pk_add_f32 v[0:1], v[208:209], v[0:1]
	v_pk_fma_f32 v[208:209], v[92:93], s[24:25], v[214:215]
	v_pk_fma_f32 v[212:213], v[92:93], s[24:25], v[214:215] neg_lo:[0,0,1] neg_hi:[0,0,1]
	v_pk_mul_f32 v[218:219], v[202:203], s[38:39]
	v_mov_b32_e32 v213, v209
	;; [unrolled: 5-line block ×3, first 2 shown]
	s_mov_b32 s31, 0x3f4c4adb
	v_pk_add_f32 v[0:1], v[216:217], v[0:1]
	v_pk_fma_f32 v[216:217], v[108:109], s[20:21], v[220:221]
	v_pk_fma_f32 v[222:223], v[108:109], s[20:21], v[220:221] neg_lo:[0,0,1] neg_hi:[0,0,1]
	s_mov_b32 s50, s31
	s_mov_b32 s51, s18
	v_mov_b32_e32 v223, v217
	s_mov_b32 s30, s18
	v_pk_mul_f32 v[228:229], v[236:237], s[50:51]
	v_pk_add_f32 v[0:1], v[222:223], v[0:1]
	v_pk_fma_f32 v[222:223], v[118:119], s[30:31], v[228:229]
	v_pk_fma_f32 v[224:225], v[118:119], s[30:31], v[228:229] neg_lo:[0,0,1] neg_hi:[0,0,1]
	v_pk_mul_f32 v[230:231], v[42:43], s[58:59]
	v_mov_b32_e32 v225, v223
	v_pk_add_f32 v[0:1], v[224:225], v[0:1]
	v_pk_fma_f32 v[226:227], v[192:193], s[28:29], v[230:231]
	v_pk_fma_f32 v[224:225], v[192:193], s[28:29], v[230:231] neg_lo:[0,0,1] neg_hi:[0,0,1]
	v_pk_mul_f32 v[232:233], v[46:47], s[44:45]
	v_mov_b32_e32 v225, v227
	v_pk_add_f32 v[0:1], v[224:225], v[0:1]
	v_pk_fma_f32 v[224:225], v[80:81], s[16:17], v[232:233]
	v_accvgpr_write_b32 a3, v1
	v_accvgpr_write_b32 a2, v0
	v_pk_fma_f32 v[0:1], v[80:81], s[16:17], v[232:233] neg_lo:[0,0,1] neg_hi:[0,0,1]
	v_pk_mul_f32 v[234:235], v[170:171], s[52:53]
	v_mov_b32_e32 v1, v225
	v_pk_fma_f32 v[170:171], v[82:83], s[40:41], v[234:235]
	v_pk_fma_f32 v[46:47], v[82:83], s[40:41], v[234:235] neg_lo:[0,0,1] neg_hi:[0,0,1]
	v_pk_mul_f32 v[242:243], v[2:3], s[58:59]
	v_mov_b32_e32 v47, v171
	v_pk_add_f32 v[0:1], v[4:5], v[0:1]
	v_pk_fma_f32 v[240:241], v[86:87], s[28:29], v[242:243]
	v_pk_fma_f32 v[2:3], v[86:87], s[28:29], v[242:243] neg_lo:[0,0,1] neg_hi:[0,0,1]
	v_pk_add_f32 v[0:1], v[46:47], v[0:1]
	v_mov_b32_e32 v3, v241
	v_pk_mul_f32 v[244:245], v[168:169], s[38:39]
	v_pk_add_f32 v[0:1], v[2:3], v[0:1]
	v_pk_fma_f32 v[168:169], v[92:93], s[12:13], v[244:245]
	v_pk_fma_f32 v[2:3], v[92:93], s[12:13], v[244:245] neg_lo:[0,0,1] neg_hi:[0,0,1]
	v_pk_mul_f32 v[246:247], v[202:203], s[48:49]
	v_mov_b32_e32 v3, v169
	s_mov_b32 s39, 0x3f7ee86f
	v_pk_add_f32 v[0:1], v[2:3], v[0:1]
	v_pk_fma_f32 v[202:203], v[100:101], s[22:23], v[246:247]
	v_pk_fma_f32 v[2:3], v[100:101], s[22:23], v[246:247] neg_lo:[0,0,1] neg_hi:[0,0,1]
	s_mov_b32 s44, s39
	s_mov_b32 s45, s14
	v_mov_b32_e32 v3, v203
	v_pk_mul_f32 v[248:249], v[204:205], s[44:45]
	s_mov_b32 s38, s14
	v_pk_add_f32 v[0:1], v[2:3], v[0:1]
	v_pk_fma_f32 v[204:205], v[108:109], s[38:39], v[248:249]
	v_pk_fma_f32 v[2:3], v[108:109], s[38:39], v[248:249] neg_lo:[0,0,1] neg_hi:[0,0,1]
	v_pk_mul_f32 v[252:253], v[236:237], s[26:27]
	v_mov_b32_e32 v3, v205
	v_pk_add_f32 v[0:1], v[2:3], v[0:1]
	v_pk_fma_f32 v[236:237], v[118:119], s[4:5], v[252:253]
	v_pk_fma_f32 v[2:3], v[118:119], s[4:5], v[252:253] neg_lo:[0,0,1] neg_hi:[0,0,1]
	v_pk_mul_f32 v[254:255], v[42:43], s[42:43]
	v_mov_b32_e32 v3, v237
	;; [unrolled: 5-line block ×3, first 2 shown]
	v_pk_add_f32 v[46:47], v[2:3], v[0:1]
	v_pk_fma_f32 v[0:1], v[192:193], s[22:23], v[42:43]
	v_pk_fma_f32 v[2:3], v[192:193], s[22:23], v[42:43] neg_lo:[0,0,1] neg_hi:[0,0,1]
	s_movk_i32 s26, 0x78
	v_mov_b32_e32 v3, v1
	v_pk_add_f32 v[2:3], v[2:3], v[54:55]
	v_cmp_gt_u32_e32 vcc, s26, v40
	s_barrier
	s_and_saveexec_b64 s[26:27], vcc
	s_cbranch_execz .LBB0_15
; %bb.14:
	v_pk_add_f32 v[6:7], v[4:5], v[6:7]
	v_accvgpr_read_b32 v55, a5
	v_pk_add_f32 v[6:7], v[6:7], v[12:13]
	v_pk_mul_f32 v[12:13], v[80:81], s[4:5]
	v_pk_add_f32 v[6:7], v[6:7], v[14:15]
	v_pk_mul_f32 v[14:15], v[82:83], s[10:11]
	v_pk_add_f32 v[6:7], v[6:7], v[20:21]
	v_pk_add_f32 v[14:15], v[96:97], v[14:15] neg_lo:[0,1] neg_hi:[0,1]
	v_pk_add_f32 v[6:7], v[6:7], v[22:23]
	v_pk_add_f32 v[12:13], v[90:91], v[12:13] neg_lo:[0,1] neg_hi:[0,1]
	v_pk_add_f32 v[6:7], v[6:7], v[28:29]
	v_mov_b32_e32 v95, v15
	v_pk_add_f32 v[6:7], v[6:7], v[30:31]
	v_pk_mul_f32 v[14:15], v[118:119], s[34:35]
	v_pk_add_f32 v[6:7], v[6:7], v[32:33]
	v_pk_mul_f32 v[20:21], v[86:87], s[12:13]
	v_pk_add_f32 v[6:7], v[6:7], v[34:35]
	v_mov_b32_e32 v89, v13
	v_pk_add_f32 v[6:7], v[6:7], v[24:25]
	v_pk_add_f32 v[14:15], v[148:149], v[14:15] neg_lo:[0,1] neg_hi:[0,1]
	v_pk_add_f32 v[6:7], v[6:7], v[26:27]
	v_pk_add_f32 v[34:35], v[4:5], v[88:89]
	;; [unrolled: 1-line block ×3, first 2 shown]
	v_pk_add_f32 v[20:21], v[98:99], v[20:21] neg_lo:[0,1] neg_hi:[0,1]
	v_pk_add_f32 v[6:7], v[6:7], v[18:19]
	v_pk_mul_f32 v[88:89], v[80:81], s[12:13]
	v_pk_add_f32 v[6:7], v[6:7], v[8:9]
	v_pk_mul_f32 v[8:9], v[80:81], s[10:11]
	;; [unrolled: 2-line block ×4, first 2 shown]
	v_pk_add_f32 v[8:9], v[126:127], v[8:9] neg_lo:[0,1] neg_hi:[0,1]
	v_mov_b32_e32 v151, v15
	v_pk_add_f32 v[14:15], v[156:157], v[84:85] neg_lo:[0,1] neg_hi:[0,1]
	v_pk_mul_f32 v[28:29], v[86:87], s[18:19]
	v_mov_b32_e32 v103, v21
	v_pk_mul_f32 v[20:21], v[82:83], s[18:19]
	v_mov_b32_e32 v115, v9
	v_pk_add_f32 v[10:11], v[120:121], v[10:11] neg_lo:[0,1] neg_hi:[0,1]
	v_mov_b32_e32 v155, v15
	v_pk_add_f32 v[14:15], v[160:161], v[88:89] neg_lo:[0,1] neg_hi:[0,1]
	v_pk_mul_f32 v[22:23], v[92:93], s[14:15]
	v_pk_mul_f32 v[30:31], v[92:93], s[22:23]
	;; [unrolled: 1-line block ×3, first 2 shown]
	v_mov_b32_e32 v117, v11
	v_pk_add_f32 v[114:115], v[4:5], v[114:115]
	v_pk_add_f32 v[28:29], v[134:135], v[28:29] neg_lo:[0,1] neg_hi:[0,1]
	v_mov_b32_e32 v153, v15
	v_pk_add_f32 v[20:21], v[162:163], v[20:21] neg_lo:[0,1] neg_hi:[0,1]
	v_pk_mul_f32 v[12:13], v[100:101], s[40:41]
	v_pk_add_f32 v[34:35], v[94:95], v[34:35]
	v_pk_add_f32 v[22:23], v[106:107], v[22:23] neg_lo:[0,1] neg_hi:[0,1]
	v_pk_mul_f32 v[94:95], v[92:93], s[36:37]
	v_pk_add_f32 v[114:115], v[116:117], v[114:115]
	v_mov_b32_e32 v133, v29
	v_pk_add_f32 v[30:31], v[138:139], v[30:31] neg_lo:[0,1] neg_hi:[0,1]
	v_pk_add_f32 v[14:15], v[4:5], v[152:153]
	v_mov_b32_e32 v159, v21
	v_pk_add_f32 v[20:21], v[172:173], v[90:91] neg_lo:[0,1] neg_hi:[0,1]
	v_mov_b32_e32 v105, v23
	v_pk_mul_f32 v[22:23], v[100:101], s[28:29]
	v_pk_add_f32 v[28:29], v[132:133], v[114:115]
	v_mov_b32_e32 v137, v31
	v_pk_add_f32 v[12:13], v[142:143], v[12:13] neg_lo:[0,1] neg_hi:[0,1]
	v_pk_add_f32 v[14:15], v[158:159], v[14:15]
	v_mov_b32_e32 v165, v21
	v_pk_add_f32 v[20:21], v[174:175], v[94:95] neg_lo:[0,1] neg_hi:[0,1]
	v_pk_mul_f32 v[24:25], v[100:101], s[16:17]
	v_pk_mul_f32 v[32:33], v[108:109], s[36:37]
	;; [unrolled: 1-line block ×3, first 2 shown]
	v_pk_add_f32 v[28:29], v[136:137], v[28:29]
	v_mov_b32_e32 v141, v13
	v_pk_add_f32 v[14:15], v[164:165], v[14:15]
	v_mov_b32_e32 v167, v21
	v_pk_add_f32 v[20:21], v[188:189], v[22:23] neg_lo:[0,1] neg_hi:[0,1]
	v_pk_mul_f32 v[26:27], v[108:109], s[18:19]
	v_pk_add_f32 v[34:35], v[102:103], v[34:35]
	v_pk_add_f32 v[24:25], v[110:111], v[24:25] neg_lo:[0,1] neg_hi:[0,1]
	v_pk_mul_f32 v[98:99], v[118:119], s[14:15]
	v_pk_add_f32 v[12:13], v[140:141], v[28:29]
	v_pk_add_f32 v[28:29], v[146:147], v[32:33] neg_lo:[0,1] neg_hi:[0,1]
	v_pk_add_f32 v[14:15], v[166:167], v[14:15]
	v_mov_b32_e32 v183, v21
	v_pk_add_f32 v[20:21], v[194:195], v[96:97] neg_lo:[0,1] neg_hi:[0,1]
	v_pk_mul_f32 v[16:17], v[118:119], s[20:21]
	v_pk_add_f32 v[34:35], v[104:105], v[34:35]
	v_mov_b32_e32 v113, v25
	v_pk_mul_f32 v[24:25], v[192:193], s[20:21]
	v_pk_add_f32 v[26:27], v[124:125], v[26:27] neg_lo:[0,1] neg_hi:[0,1]
	v_mov_b32_e32 v145, v29
	v_pk_add_f32 v[14:15], v[182:183], v[14:15]
	v_mov_b32_e32 v187, v21
	v_pk_add_f32 v[20:21], v[198:199], v[98:99] neg_lo:[0,1] neg_hi:[0,1]
	v_pk_add_f32 v[34:35], v[112:113], v[34:35]
	v_mov_b32_e32 v123, v27
	v_pk_add_f32 v[16:17], v[130:131], v[16:17] neg_lo:[0,1] neg_hi:[0,1]
	v_pk_add_f32 v[12:13], v[144:145], v[12:13]
	v_pk_add_f32 v[14:15], v[186:187], v[14:15]
	v_mov_b32_e32 v191, v21
	v_pk_add_f32 v[20:21], v[200:201], v[24:25] neg_lo:[0,1] neg_hi:[0,1]
	v_pk_add_f32 v[34:35], v[122:123], v[34:35]
	v_mov_b32_e32 v129, v17
	v_pk_add_f32 v[12:13], v[150:151], v[12:13]
	v_pk_add_f32 v[14:15], v[190:191], v[14:15]
	v_mov_b32_e32 v197, v21
	v_pk_mul_f32 v[104:105], v[82:83], s[22:23]
	v_pk_add_f32 v[34:35], v[128:129], v[34:35]
	v_lshl_add_u32 v128, v40, 7, v44
	v_pk_add_f32 v[12:13], v[154:155], v[12:13]
	v_pk_add_f32 v[14:15], v[196:197], v[14:15]
	v_pk_mul_f32 v[26:27], v[86:87], s[36:37]
	ds_write2_b64 v128, v[12:13], v[14:15] offset0:2 offset1:3
	v_pk_add_f32 v[14:15], v[184:185], v[104:105] neg_lo:[0,1] neg_hi:[0,1]
	v_pk_mul_f32 v[106:107], v[92:93], s[24:25]
	v_mov_b32_e32 v179, v15
	v_pk_add_f32 v[14:15], v[210:211], v[26:27] neg_lo:[0,1] neg_hi:[0,1]
	v_pk_mul_f32 v[110:111], v[100:101], s[12:13]
	v_mov_b32_e32 v207, v15
	;; [unrolled: 3-line block ×3, first 2 shown]
	v_pk_add_f32 v[14:15], v[218:219], v[110:111] neg_lo:[0,1] neg_hi:[0,1]
	v_pk_mul_f32 v[18:19], v[192:193], s[22:23]
	v_pk_mul_f32 v[112:113], v[118:119], s[30:31]
	v_mov_b32_e32 v213, v15
	v_pk_add_f32 v[14:15], v[220:221], v[16:17] neg_lo:[0,1] neg_hi:[0,1]
	v_pk_add_f32 v[18:19], v[42:43], v[18:19] neg_lo:[0,1] neg_hi:[0,1]
	v_pk_mul_f32 v[42:43], v[192:193], s[28:29]
	v_mov_b32_e32 v217, v15
	v_pk_add_f32 v[14:15], v[228:229], v[112:113] neg_lo:[0,1] neg_hi:[0,1]
	v_pk_mul_f32 v[102:103], v[80:81], s[14:15]
	v_pk_mul_f32 v[80:81], v[80:81], s[16:17]
	v_mov_b32_e32 v223, v15
	v_pk_add_f32 v[14:15], v[230:231], v[42:43] neg_lo:[0,1] neg_hi:[0,1]
	v_pk_mul_f32 v[82:83], v[82:83], s[40:41]
	v_pk_add_f32 v[12:13], v[180:181], v[102:103] neg_lo:[0,1] neg_hi:[0,1]
	v_mov_b32_e32 v227, v15
	v_pk_add_f32 v[14:15], v[232:233], v[80:81] neg_lo:[0,1] neg_hi:[0,1]
	v_pk_mul_f32 v[86:87], v[86:87], s[28:29]
	v_mov_b32_e32 v177, v13
	v_mov_b32_e32 v225, v15
	v_pk_add_f32 v[16:17], v[234:235], v[82:83] neg_lo:[0,1] neg_hi:[0,1]
	v_pk_mul_f32 v[92:93], v[92:93], s[12:13]
	v_pk_add_f32 v[12:13], v[4:5], v[176:177]
	v_pk_add_f32 v[14:15], v[4:5], v[224:225]
	v_mov_b32_e32 v171, v17
	v_pk_add_f32 v[16:17], v[242:243], v[86:87] neg_lo:[0,1] neg_hi:[0,1]
	v_pk_mul_f32 v[100:101], v[100:101], s[22:23]
	v_pk_add_f32 v[12:13], v[178:179], v[12:13]
	v_pk_add_f32 v[14:15], v[170:171], v[14:15]
	;; [unrolled: 5-line block ×5, first 2 shown]
	v_mov_b32_e32 v205, v17
	v_pk_add_f32 v[16:17], v[252:253], v[118:119] neg_lo:[0,1] neg_hi:[0,1]
	v_pk_add_f32 v[12:13], v[216:217], v[12:13]
	v_pk_add_f32 v[14:15], v[204:205], v[14:15]
	v_mov_b32_e32 v237, v17
	v_pk_add_f32 v[16:17], v[254:255], v[122:123] neg_lo:[0,1] neg_hi:[0,1]
	s_mov_b32 s24, s19
	v_accvgpr_read_b32 v54, a4
	v_pk_add_f32 v[12:13], v[222:223], v[12:13]
	v_pk_add_f32 v[14:15], v[236:237], v[14:15]
	v_mov_b32_e32 v251, v17
	v_mov_b32_e32 v1, v19
	v_pk_mul_f32 v[18:19], v[54:55], s[24:25] op_sel_hi:[1,0]
	s_mov_b32 s28, s37
	v_pk_add_f32 v[12:13], v[226:227], v[12:13]
	v_pk_add_f32 v[14:15], v[250:251], v[14:15]
	;; [unrolled: 1-line block ×3, first 2 shown]
	v_pk_mul_f32 v[34:35], v[56:57], s[28:29] op_sel_hi:[1,0]
	ds_write2_b64 v128, v[12:13], v[14:15] offset0:4 offset1:5
	v_pk_fma_f32 v[12:13], v[52:53], s[18:19], v[18:19] op_sel:[0,0,1] op_sel_hi:[1,0,0]
	v_pk_fma_f32 v[14:15], v[52:53], s[18:19], v[18:19] op_sel:[0,0,1] op_sel_hi:[1,0,0] neg_lo:[0,0,1] neg_hi:[0,0,1]
	s_mov_b32 s38, s5
	v_mov_b32_e32 v16, v12
	v_mov_b32_e32 v17, v15
	v_pk_fma_f32 v[18:19], v[50:51], s[16:17], v[34:35] op_sel:[0,0,1] op_sel_hi:[1,0,0]
	v_pk_fma_f32 v[20:21], v[50:51], s[16:17], v[34:35] op_sel:[0,0,1] op_sel_hi:[1,0,0] neg_lo:[0,0,1] neg_hi:[0,0,1]
	ds_write2_b64 v128, v[6:7], v[0:1] offset1:1
	v_pk_mul_f32 v[0:1], v[58:59], s[38:39] op_sel_hi:[1,0]
	v_pk_add_f32 v[16:17], v[4:5], v[16:17]
	v_mov_b32_e32 v22, v18
	v_mov_b32_e32 v23, v21
	s_mov_b32 s30, s21
	v_pk_add_f32 v[16:17], v[22:23], v[16:17]
	v_pk_fma_f32 v[22:23], v[48:49], s[4:5], v[0:1] op_sel:[0,0,1] op_sel_hi:[1,0,0]
	v_pk_fma_f32 v[0:1], v[48:49], s[4:5], v[0:1] op_sel:[0,0,1] op_sel_hi:[1,0,0] neg_lo:[0,0,1] neg_hi:[0,0,1]
	v_pk_mul_f32 v[6:7], v[64:65], s[30:31] op_sel_hi:[1,0]
	v_mov_b32_e32 v24, v22
	v_mov_b32_e32 v25, v1
	s_mov_b32 s28, s39
	v_pk_add_f32 v[16:17], v[24:25], v[16:17]
	v_pk_fma_f32 v[24:25], v[60:61], s[20:21], v[6:7] op_sel:[0,0,1] op_sel_hi:[1,0,0]
	v_pk_fma_f32 v[6:7], v[60:61], s[20:21], v[6:7] op_sel:[0,0,1] op_sel_hi:[1,0,0] neg_lo:[0,0,1] neg_hi:[0,0,1]
	v_pk_mul_f32 v[124:125], v[68:69], s[28:29] op_sel_hi:[1,0]
	v_mov_b32_e32 v26, v24
	v_mov_b32_e32 v27, v7
	s_mov_b32 s34, s11
	v_pk_add_f32 v[16:17], v[26:27], v[16:17]
	v_pk_fma_f32 v[26:27], v[62:63], s[14:15], v[124:125] op_sel:[0,0,1] op_sel_hi:[1,0,0]
	v_pk_fma_f32 v[28:29], v[62:63], s[14:15], v[124:125] op_sel:[0,0,1] op_sel_hi:[1,0,0] neg_lo:[0,0,1] neg_hi:[0,0,1]
	v_pk_mul_f32 v[8:9], v[72:73], s[34:35] op_sel_hi:[1,0]
	v_mov_b32_e32 v30, v26
	v_mov_b32_e32 v31, v29
	s_mov_b32 s36, s23
	v_pk_add_f32 v[16:17], v[30:31], v[16:17]
	v_pk_fma_f32 v[30:31], v[66:67], s[10:11], v[8:9] op_sel:[0,0,1] op_sel_hi:[1,0,0]
	v_pk_fma_f32 v[8:9], v[66:67], s[10:11], v[8:9] op_sel:[0,0,1] op_sel_hi:[1,0,0] neg_lo:[0,0,1] neg_hi:[0,0,1]
	v_pk_mul_f32 v[120:121], v[74:75], s[36:37] op_sel_hi:[1,0]
	v_mov_b32_e32 v32, v30
	v_mov_b32_e32 v33, v9
	s_mov_b32 s34, s35
	v_pk_add_f32 v[16:17], v[32:33], v[16:17]
	v_pk_fma_f32 v[32:33], v[70:71], s[22:23], v[120:121] op_sel:[0,0,1] op_sel_hi:[1,0,0]
	v_pk_fma_f32 v[34:35], v[70:71], s[22:23], v[120:121] op_sel:[0,0,1] op_sel_hi:[1,0,0] neg_lo:[0,0,1] neg_hi:[0,0,1]
	v_pk_mul_f32 v[10:11], v[78:79], s[34:35] op_sel_hi:[1,0]
	v_mov_b32_e32 v42, v32
	v_mov_b32_e32 v43, v35
	v_pk_add_f32 v[16:17], v[42:43], v[16:17]
	v_pk_fma_f32 v[42:43], v[76:77], s[12:13], v[10:11] op_sel:[0,0,1] op_sel_hi:[1,0,0]
	v_pk_fma_f32 v[10:11], v[76:77], s[12:13], v[10:11] op_sel:[0,0,1] op_sel_hi:[1,0,0] neg_lo:[0,0,1] neg_hi:[0,0,1]
	v_mov_b32_e32 v80, v42
	v_mov_b32_e32 v81, v11
	v_pk_add_f32 v[16:17], v[80:81], v[16:17]
	v_pk_mul_f32 v[80:81], v[54:55], s[30:31] op_sel_hi:[1,0]
	v_pk_mul_f32 v[82:83], v[56:57], s[34:35] op_sel_hi:[1,0]
	v_pk_fma_f32 v[96:97], v[52:53], s[20:21], v[80:81] op_sel:[0,0,1] op_sel_hi:[1,0,0]
	v_pk_fma_f32 v[80:81], v[52:53], s[20:21], v[80:81] op_sel:[0,0,1] op_sel_hi:[1,0,0] neg_lo:[0,0,1] neg_hi:[0,0,1]
	s_mov_b32 s40, s15
	v_mov_b32_e32 v98, v96
	v_mov_b32_e32 v99, v81
	v_pk_fma_f32 v[100:101], v[50:51], s[12:13], v[82:83] op_sel:[0,0,1] op_sel_hi:[1,0,0]
	v_pk_fma_f32 v[82:83], v[50:51], s[12:13], v[82:83] op_sel:[0,0,1] op_sel_hi:[1,0,0] neg_lo:[0,0,1] neg_hi:[0,0,1]
	v_pk_mul_f32 v[84:85], v[58:59], s[40:41] op_sel_hi:[1,0]
	v_pk_add_f32 v[98:99], v[4:5], v[98:99]
	v_mov_b32_e32 v102, v100
	v_mov_b32_e32 v103, v83
	s_mov_b32 s40, s31
	v_pk_add_f32 v[98:99], v[102:103], v[98:99]
	v_pk_fma_f32 v[102:103], v[48:49], s[14:15], v[84:85] op_sel:[0,0,1] op_sel_hi:[1,0,0]
	v_pk_fma_f32 v[84:85], v[48:49], s[14:15], v[84:85] op_sel:[0,0,1] op_sel_hi:[1,0,0] neg_lo:[0,0,1] neg_hi:[0,0,1]
	v_pk_mul_f32 v[86:87], v[64:65], s[40:41] op_sel_hi:[1,0]
	v_mov_b32_e32 v104, v102
	v_mov_b32_e32 v105, v85
	v_pk_add_f32 v[98:99], v[104:105], v[98:99]
	v_pk_fma_f32 v[104:105], v[60:61], s[18:19], v[86:87] op_sel:[0,0,1] op_sel_hi:[1,0,0]
	v_pk_fma_f32 v[86:87], v[60:61], s[18:19], v[86:87] op_sel:[0,0,1] op_sel_hi:[1,0,0] neg_lo:[0,0,1] neg_hi:[0,0,1]
	v_pk_mul_f32 v[88:89], v[68:69], s[38:39] op_sel_hi:[1,0]
	v_mov_b32_e32 v106, v104
	v_mov_b32_e32 v107, v87
	v_pk_add_f32 v[98:99], v[106:107], v[98:99]
	v_pk_fma_f32 v[106:107], v[62:63], s[4:5], v[88:89] op_sel:[0,0,1] op_sel_hi:[1,0,0]
	v_pk_fma_f32 v[88:89], v[62:63], s[4:5], v[88:89] op_sel:[0,0,1] op_sel_hi:[1,0,0] neg_lo:[0,0,1] neg_hi:[0,0,1]
	v_pk_mul_f32 v[90:91], v[72:73], s[36:37] op_sel_hi:[1,0]
	v_mov_b32_e32 v108, v106
	v_mov_b32_e32 v109, v89
	s_mov_b32 s38, s29
	v_pk_add_f32 v[98:99], v[108:109], v[98:99]
	v_pk_fma_f32 v[108:109], v[66:67], s[22:23], v[90:91] op_sel:[0,0,1] op_sel_hi:[1,0,0]
	v_pk_fma_f32 v[90:91], v[66:67], s[22:23], v[90:91] op_sel:[0,0,1] op_sel_hi:[1,0,0] neg_lo:[0,0,1] neg_hi:[0,0,1]
	v_pk_mul_f32 v[92:93], v[74:75], s[38:39] op_sel_hi:[1,0]
	v_mov_b32_e32 v110, v108
	v_mov_b32_e32 v111, v91
	s_mov_b32 s40, s17
	v_pk_add_f32 v[98:99], v[110:111], v[98:99]
	v_pk_fma_f32 v[110:111], v[70:71], s[10:11], v[92:93] op_sel:[0,0,1] op_sel_hi:[1,0,0]
	v_pk_fma_f32 v[92:93], v[70:71], s[10:11], v[92:93] op_sel:[0,0,1] op_sel_hi:[1,0,0] neg_lo:[0,0,1] neg_hi:[0,0,1]
	v_pk_mul_f32 v[94:95], v[78:79], s[40:41] op_sel_hi:[1,0]
	v_mov_b32_e32 v112, v110
	v_mov_b32_e32 v113, v93
	v_pk_add_f32 v[98:99], v[112:113], v[98:99]
	v_pk_fma_f32 v[112:113], v[76:77], s[16:17], v[94:95] op_sel:[0,0,1] op_sel_hi:[1,0,0]
	v_pk_fma_f32 v[94:95], v[76:77], s[16:17], v[94:95] op_sel:[0,0,1] op_sel_hi:[1,0,0] neg_lo:[0,0,1] neg_hi:[0,0,1]
	v_mov_b32_e32 v114, v112
	v_mov_b32_e32 v115, v95
	v_pk_add_f32 v[98:99], v[114:115], v[98:99]
	ds_write2_b64 v128, v[16:17], v[98:99] offset0:6 offset1:7
	v_pk_mul_f32 v[16:17], v[54:55], s[36:37] op_sel_hi:[1,0]
	s_mov_b32 s36, s25
	v_pk_mul_f32 v[54:55], v[56:57], s[36:37] op_sel_hi:[1,0]
	v_pk_mul_f32 v[56:57], v[58:59], s[30:31] op_sel_hi:[1,0]
	;; [unrolled: 1-line block ×7, first 2 shown]
	v_pk_fma_f32 v[78:79], v[52:53], s[22:23], v[16:17] op_sel:[0,0,1] op_sel_hi:[1,0,0]
	v_pk_fma_f32 v[16:17], v[52:53], s[22:23], v[16:17] op_sel:[0,0,1] op_sel_hi:[1,0,0] neg_lo:[0,0,1] neg_hi:[0,0,1]
	v_mov_b32_e32 v52, v78
	v_mov_b32_e32 v53, v17
	v_pk_fma_f32 v[98:99], v[50:51], s[4:5], v[54:55] op_sel:[0,0,1] op_sel_hi:[1,0,0]
	v_pk_fma_f32 v[50:51], v[50:51], s[4:5], v[54:55] op_sel:[0,0,1] op_sel_hi:[1,0,0] neg_lo:[0,0,1] neg_hi:[0,0,1]
	v_pk_add_f32 v[52:53], v[4:5], v[52:53]
	v_mov_b32_e32 v54, v98
	v_mov_b32_e32 v55, v51
	v_pk_add_f32 v[52:53], v[54:55], v[52:53]
	v_pk_fma_f32 v[54:55], v[48:49], s[20:21], v[56:57] op_sel:[0,0,1] op_sel_hi:[1,0,0]
	v_pk_fma_f32 v[48:49], v[48:49], s[20:21], v[56:57] op_sel:[0,0,1] op_sel_hi:[1,0,0] neg_lo:[0,0,1] neg_hi:[0,0,1]
	v_mov_b32_e32 v56, v54
	v_mov_b32_e32 v57, v49
	v_pk_add_f32 v[52:53], v[56:57], v[52:53]
	v_pk_fma_f32 v[56:57], v[60:61], s[10:11], v[58:59] op_sel:[0,0,1] op_sel_hi:[1,0,0]
	v_pk_fma_f32 v[58:59], v[60:61], s[10:11], v[58:59] op_sel:[0,0,1] op_sel_hi:[1,0,0] neg_lo:[0,0,1] neg_hi:[0,0,1]
	v_mov_b32_e32 v60, v56
	v_mov_b32_e32 v61, v59
	v_pk_add_f32 v[52:53], v[60:61], v[52:53]
	v_pk_fma_f32 v[60:61], v[62:63], s[18:19], v[64:65] op_sel:[0,0,1] op_sel_hi:[1,0,0]
	v_pk_fma_f32 v[62:63], v[62:63], s[18:19], v[64:65] op_sel:[0,0,1] op_sel_hi:[1,0,0] neg_lo:[0,0,1] neg_hi:[0,0,1]
	v_mov_b32_e32 v17, v79
	v_mov_b32_e32 v64, v60
	v_mov_b32_e32 v65, v63
	v_pk_add_f32 v[16:17], v[4:5], v[16:17]
	v_mov_b32_e32 v51, v99
	v_pk_add_f32 v[52:53], v[64:65], v[52:53]
	v_pk_fma_f32 v[64:65], v[66:67], s[12:13], v[68:69] op_sel:[0,0,1] op_sel_hi:[1,0,0]
	v_pk_fma_f32 v[66:67], v[66:67], s[12:13], v[68:69] op_sel:[0,0,1] op_sel_hi:[1,0,0] neg_lo:[0,0,1] neg_hi:[0,0,1]
	v_pk_add_f32 v[16:17], v[50:51], v[16:17]
	v_mov_b32_e32 v49, v55
	v_mov_b32_e32 v68, v64
	v_mov_b32_e32 v69, v67
	v_pk_add_f32 v[16:17], v[48:49], v[16:17]
	v_mov_b32_e32 v59, v57
	v_pk_add_f32 v[52:53], v[68:69], v[52:53]
	v_pk_fma_f32 v[68:69], v[70:71], s[16:17], v[72:73] op_sel:[0,0,1] op_sel_hi:[1,0,0]
	v_pk_fma_f32 v[70:71], v[70:71], s[16:17], v[72:73] op_sel:[0,0,1] op_sel_hi:[1,0,0] neg_lo:[0,0,1] neg_hi:[0,0,1]
	v_pk_add_f32 v[16:17], v[58:59], v[16:17]
	v_mov_b32_e32 v63, v61
	v_mov_b32_e32 v72, v68
	v_mov_b32_e32 v73, v71
	v_pk_add_f32 v[16:17], v[62:63], v[16:17]
	v_mov_b32_e32 v67, v65
	v_pk_add_f32 v[52:53], v[72:73], v[52:53]
	v_pk_fma_f32 v[72:73], v[76:77], s[14:15], v[74:75] op_sel:[0,0,1] op_sel_hi:[1,0,0]
	v_pk_fma_f32 v[74:75], v[76:77], s[14:15], v[74:75] op_sel:[0,0,1] op_sel_hi:[1,0,0] neg_lo:[0,0,1] neg_hi:[0,0,1]
	v_pk_add_f32 v[16:17], v[66:67], v[16:17]
	v_mov_b32_e32 v71, v69
	v_mov_b32_e32 v76, v72
	;; [unrolled: 1-line block ×3, first 2 shown]
	v_pk_add_f32 v[16:17], v[70:71], v[16:17]
	v_mov_b32_e32 v75, v73
	v_pk_add_f32 v[52:53], v[76:77], v[52:53]
	v_pk_add_f32 v[16:17], v[74:75], v[16:17]
	v_mov_b32_e32 v81, v97
	v_mov_b32_e32 v15, v13
	ds_write2_b64 v128, v[52:53], v[16:17] offset0:8 offset1:9
	v_pk_add_f32 v[16:17], v[4:5], v[80:81]
	v_mov_b32_e32 v83, v101
	v_pk_add_f32 v[4:5], v[4:5], v[14:15]
	v_mov_b32_e32 v21, v19
	;; [unrolled: 2-line block ×14, first 2 shown]
	v_pk_add_f32 v[16:17], v[94:95], v[16:17]
	v_pk_add_f32 v[0:1], v[10:11], v[0:1]
	ds_write2_b64 v128, v[16:17], v[0:1] offset0:10 offset1:11
	v_accvgpr_read_b32 v0, a2
	v_accvgpr_read_b32 v1, a3
	ds_write2_b64 v128, v[46:47], v[0:1] offset0:12 offset1:13
	v_accvgpr_read_b32 v0, a0
	v_accvgpr_read_b32 v1, a1
	ds_write2_b64 v128, v[0:1], v[238:239] offset0:14 offset1:15
	ds_write_b64 v128, v[2:3] offset:128
.LBB0_15:
	s_or_b64 exec, exec, s[26:27]
	v_add_u32_e32 v28, 0xaa, v40
	s_mov_b32 s4, 0xf0f1
	v_add_u32_e32 v30, 0x154, v40
	v_mul_u32_u24_sdwa v31, v28, s4 dst_sel:DWORD dst_unused:UNUSED_PAD src0_sel:WORD_0 src1_sel:DWORD
	v_lshrrev_b32_e32 v60, 20, v31
	v_mul_u32_u24_sdwa v63, v30, s4 dst_sel:DWORD dst_unused:UNUSED_PAD src0_sel:WORD_0 src1_sel:DWORD
	v_mul_lo_u16_e32 v0, 17, v60
	v_lshrrev_b32_e32 v62, 20, v63
	v_sub_u16_e32 v61, v28, v0
	v_mul_lo_u16_e32 v0, 17, v62
	v_sub_u16_e32 v64, v30, v0
	v_mul_u32_u24_e32 v0, 3, v64
	v_lshlrev_b32_e32 v8, 3, v0
	s_load_dwordx2 s[2:3], s[2:3], 0x0
	s_waitcnt lgkmcnt(0)
	s_barrier
	global_load_dwordx2 v[0:1], v8, s[8:9] offset:16
	global_load_dwordx4 v[4:7], v8, s[8:9]
	v_mul_u32_u24_e32 v8, 3, v61
	v_lshlrev_b32_e32 v12, 3, v8
	s_movk_i32 s5, 0xf1
	global_load_dwordx4 v[8:11], v12, s[8:9]
	global_load_dwordx2 v[48:49], v12, s[8:9] offset:16
	v_mul_lo_u16_sdwa v12, v40, s5 dst_sel:DWORD dst_unused:UNUSED_PAD src0_sel:BYTE_0 src1_sel:DWORD
	v_lshrrev_b16_e32 v65, 12, v12
	v_mul_lo_u16_e32 v12, 17, v65
	v_mov_b32_e32 v74, 3
	v_sub_u16_e32 v66, v40, v12
	v_mul_u32_u24_sdwa v12, v66, v74 dst_sel:DWORD dst_unused:UNUSED_PAD src0_sel:BYTE_0 src1_sel:DWORD
	v_lshlrev_b32_e32 v16, 3, v12
	global_load_dwordx4 v[12:15], v16, s[8:9]
	global_load_dwordx2 v[50:51], v16, s[8:9] offset:16
	v_add_u32_e32 v76, 0xe00, v44
	v_add_u32_e32 v29, 0x1800, v44
	;; [unrolled: 1-line block ×3, first 2 shown]
	ds_read2_b64 v[16:19], v45 offset0:38 offset1:208
	s_mov_b32 s10, 0x5040100
	ds_read2_b64 v[20:23], v76 offset0:62 offset1:232
	ds_read2_b64 v[24:27], v29 offset0:82 offset1:252
	;; [unrolled: 1-line block ×3, first 2 shown]
	v_lshl_add_u32 v42, v30, 3, 0
	s_movk_i32 s5, 0x220
	v_lshl_add_u32 v43, v28, 3, 0
	ds_read_b64 v[52:53], v42
	ds_read_b64 v[54:55], v43
	ds_read_b64 v[56:57], v44 offset:14960
	ds_read_b64 v[58:59], v44
	v_perm_b32 v60, v62, v60, s10
	v_pk_mul_lo_u16 v60, v60, s5 op_sel_hi:[1,0]
	v_mul_u32_u24_e32 v65, 0x220, v65
	v_lshlrev_b32_sdwa v62, v74, v66 dst_sel:DWORD dst_unused:UNUSED_PAD src0_sel:DWORD src1_sel:BYTE_0
	v_and_b32_e32 v66, 0xffe0, v60
	v_lshlrev_b32_e32 v61, 3, v61
	v_lshrrev_b32_e32 v60, 16, v60
	v_lshlrev_b32_e32 v64, 3, v64
	v_add3_u32 v78, 0, v65, v62
	v_add3_u32 v79, 0, v66, v61
	v_add3_u32 v80, 0, v60, v64
	s_waitcnt lgkmcnt(0)
	s_barrier
	v_add_u32_e32 v75, 0x1fe, v40
	v_lshrrev_b32_e32 v31, 22, v31
	v_cmp_gt_u32_e32 vcc, 34, v40
	s_waitcnt vmcnt(5)
	v_pk_mul_f32 v[64:65], v[56:57], v[0:1] op_sel:[0,1]
	s_waitcnt vmcnt(4)
	v_pk_mul_f32 v[60:61], v[24:25], v[4:5] op_sel:[0,1]
	v_mov_b32_e32 v62, v7
	v_pk_fma_f32 v[72:73], v[24:25], v[4:5], v[60:61] op_sel:[0,0,1] op_sel_hi:[1,1,0]
	s_waitcnt vmcnt(3)
	v_pk_mul_f32 v[66:67], v[8:9], v[22:23] op_sel:[0,1]
	v_pk_mul_f32 v[68:69], v[10:11], v[16:17] op_sel:[0,1]
	s_waitcnt vmcnt(2)
	v_pk_mul_f32 v[70:71], v[34:35], v[48:49] op_sel:[0,1]
	v_pk_fma_f32 v[4:5], v[24:25], v[4:5], v[60:61] op_sel:[0,0,1] op_sel_hi:[1,0,0] neg_lo:[0,0,1] neg_hi:[0,0,1]
	v_pk_mul_f32 v[24:25], v[18:19], v[62:63] op_sel_hi:[1,0]
	v_pk_fma_f32 v[60:61], v[56:57], v[0:1], v[64:65] op_sel:[0,0,1] op_sel_hi:[1,1,0]
	v_pk_fma_f32 v[0:1], v[56:57], v[0:1], v[64:65] op_sel:[0,0,1] op_sel_hi:[1,0,0] neg_lo:[0,0,1] neg_hi:[0,0,1]
	v_pk_fma_f32 v[56:57], v[8:9], v[22:23], v[66:67] op_sel:[0,0,1] op_sel_hi:[1,1,0]
	v_pk_fma_f32 v[8:9], v[8:9], v[22:23], v[66:67] op_sel:[0,0,1] op_sel_hi:[1,0,0] neg_lo:[1,0,0] neg_hi:[1,0,0]
	;; [unrolled: 2-line block ×4, first 2 shown]
	v_mov_b32_e32 v73, v5
	v_pk_fma_f32 v[4:5], v[18:19], v[6:7], v[24:25] op_sel:[0,0,1] op_sel_hi:[1,1,0]
	v_pk_fma_f32 v[6:7], v[18:19], v[6:7], v[24:25] op_sel:[0,0,1] op_sel_hi:[1,0,0] neg_lo:[0,0,1] neg_hi:[0,0,1]
	s_waitcnt vmcnt(1)
	v_pk_mul_f32 v[24:25], v[12:13], v[20:21] op_sel:[0,1]
	v_mov_b32_e32 v17, v35
	v_pk_fma_f32 v[34:35], v[12:13], v[20:21], v[24:25] op_sel:[0,0,1] op_sel_hi:[1,1,0]
	v_pk_fma_f32 v[12:13], v[12:13], v[20:21], v[24:25] op_sel:[0,0,1] op_sel_hi:[1,0,0] neg_lo:[1,0,0] neg_hi:[1,0,0]
	v_mov_b32_e32 v57, v9
	v_mov_b32_e32 v35, v13
	v_pk_mul_f32 v[12:13], v[14:15], v[26:27] op_sel:[0,1]
	v_mov_b32_e32 v23, v11
	v_pk_fma_f32 v[20:21], v[14:15], v[26:27], v[12:13] op_sel:[0,0,1] op_sel_hi:[1,1,0]
	v_pk_fma_f32 v[12:13], v[14:15], v[26:27], v[12:13] op_sel:[0,0,1] op_sel_hi:[1,0,0] neg_lo:[1,0,0] neg_hi:[1,0,0]
	v_mov_b32_e32 v5, v7
	v_mov_b32_e32 v21, v13
	s_waitcnt vmcnt(0)
	v_pk_mul_f32 v[12:13], v[50:51], v[32:33] op_sel:[0,1]
	v_pk_add_f32 v[6:7], v[54:55], v[22:23] neg_lo:[0,1] neg_hi:[0,1]
	v_pk_fma_f32 v[14:15], v[50:51], v[32:33], v[12:13] op_sel:[0,0,1] op_sel_hi:[1,1,0]
	v_pk_fma_f32 v[12:13], v[50:51], v[32:33], v[12:13] op_sel:[0,0,1] op_sel_hi:[1,0,0] neg_lo:[1,0,0] neg_hi:[1,0,0]
	v_pk_add_f32 v[8:9], v[56:57], v[16:17] neg_lo:[0,1] neg_hi:[0,1]
	v_mov_b32_e32 v15, v13
	v_pk_add_f32 v[12:13], v[58:59], v[20:21] neg_lo:[0,1] neg_hi:[0,1]
	v_pk_add_f32 v[14:15], v[34:35], v[14:15] neg_lo:[0,1] neg_hi:[0,1]
	v_pk_fma_f32 v[20:21], v[58:59], 2.0, v[12:13] op_sel_hi:[1,0,1] neg_lo:[0,0,1] neg_hi:[0,0,1]
	v_pk_fma_f32 v[24:25], v[34:35], 2.0, v[14:15] op_sel_hi:[1,0,1] neg_lo:[0,0,1] neg_hi:[0,0,1]
	v_pk_add_f32 v[26:27], v[12:13], v[14:15] op_sel:[0,1] op_sel_hi:[1,0]
	v_pk_add_f32 v[14:15], v[12:13], v[14:15] op_sel:[0,1] op_sel_hi:[1,0] neg_lo:[0,1] neg_hi:[0,1]
	v_pk_add_f32 v[24:25], v[20:21], v[24:25] neg_lo:[0,1] neg_hi:[0,1]
	v_mov_b32_e32 v27, v15
	v_pk_fma_f32 v[20:21], v[20:21], 2.0, v[24:25] op_sel_hi:[1,0,1] neg_lo:[0,0,1] neg_hi:[0,0,1]
	v_pk_fma_f32 v[12:13], v[12:13], 2.0, v[26:27] op_sel_hi:[1,0,1] neg_lo:[0,0,1] neg_hi:[0,0,1]
	;; [unrolled: 1-line block ×4, first 2 shown]
	ds_write2_b64 v78, v[20:21], v[12:13] offset1:17
	ds_write2_b64 v78, v[24:25], v[26:27] offset0:34 offset1:51
	v_pk_add_f32 v[12:13], v[6:7], v[8:9] op_sel:[0,1] op_sel_hi:[1,0]
	v_pk_add_f32 v[8:9], v[6:7], v[8:9] op_sel:[0,1] op_sel_hi:[1,0] neg_lo:[0,1] neg_hi:[0,1]
	v_mov_b32_e32 v61, v1
	v_pk_add_f32 v[18:19], v[16:17], v[18:19] neg_lo:[0,1] neg_hi:[0,1]
	v_mov_b32_e32 v13, v9
	v_pk_add_f32 v[0:1], v[72:73], v[60:61] neg_lo:[0,1] neg_hi:[0,1]
	v_pk_add_f32 v[4:5], v[52:53], v[4:5] neg_lo:[0,1] neg_hi:[0,1]
	v_pk_fma_f32 v[16:17], v[16:17], 2.0, v[18:19] op_sel_hi:[1,0,1] neg_lo:[0,0,1] neg_hi:[0,0,1]
	v_pk_fma_f32 v[6:7], v[6:7], 2.0, v[12:13] op_sel_hi:[1,0,1] neg_lo:[0,0,1] neg_hi:[0,0,1]
	;; [unrolled: 1-line block ×4, first 2 shown]
	ds_write2_b64 v79, v[16:17], v[6:7] offset1:17
	ds_write2_b64 v79, v[18:19], v[12:13] offset0:34 offset1:51
	v_pk_add_f32 v[6:7], v[4:5], v[0:1] op_sel:[0,1] op_sel_hi:[1,0]
	v_pk_add_f32 v[0:1], v[4:5], v[0:1] op_sel:[0,1] op_sel_hi:[1,0] neg_lo:[0,1] neg_hi:[0,1]
	v_pk_add_f32 v[10:11], v[22:23], v[10:11] neg_lo:[0,1] neg_hi:[0,1]
	v_mov_b32_e32 v7, v1
	v_pk_fma_f32 v[22:23], v[22:23], 2.0, v[10:11] op_sel_hi:[1,0,1] neg_lo:[0,0,1] neg_hi:[0,0,1]
	v_pk_fma_f32 v[0:1], v[4:5], 2.0, v[6:7] op_sel_hi:[1,0,1] neg_lo:[0,0,1] neg_hi:[0,0,1]
	ds_write2_b64 v80, v[22:23], v[0:1] offset1:17
	ds_write2_b64 v80, v[10:11], v[6:7] offset0:34 offset1:51
	v_mul_u32_u24_sdwa v0, v75, s4 dst_sel:DWORD dst_unused:UNUSED_PAD src0_sel:WORD_0 src1_sel:DWORD
	v_lshrrev_b32_e32 v66, 22, v0
	v_mul_lo_u16_e32 v0, 0x44, v66
	v_sub_u16_e32 v67, v75, v0
	v_lshlrev_b32_e32 v0, 4, v67
	s_waitcnt lgkmcnt(0)
	s_barrier
	global_load_dwordx4 v[4:7], v0, s[8:9] offset:408
	v_lshrrev_b32_e32 v68, 22, v63
	v_mul_lo_u16_e32 v0, 0x44, v68
	v_sub_u16_e32 v69, v30, v0
	v_lshlrev_b32_e32 v0, 4, v69
	global_load_dwordx4 v[8:11], v0, s[8:9] offset:408
	v_mul_lo_u16_e32 v0, 0x44, v31
	v_sub_u16_e32 v70, v28, v0
	v_lshlrev_b32_e32 v0, 4, v70
	s_movk_i32 s4, 0x79
	global_load_dwordx4 v[12:15], v0, s[8:9] offset:408
	v_mul_lo_u16_sdwa v0, v40, s4 dst_sel:DWORD dst_unused:UNUSED_PAD src0_sel:BYTE_0 src1_sel:DWORD
	v_lshrrev_b16_e32 v71, 13, v0
	v_mul_lo_u16_e32 v0, 0x44, v71
	v_sub_u16_e32 v72, v40, v0
	v_mov_b32_e32 v0, 4
	v_lshlrev_b32_sdwa v0, v0, v72 dst_sel:DWORD dst_unused:UNUSED_PAD src0_sel:DWORD src1_sel:BYTE_0
	global_load_dwordx4 v[16:19], v0, s[8:9] offset:408
	ds_read2_b64 v[20:23], v76 offset0:62 offset1:232
	ds_read2_b64 v[24:27], v45 offset0:38 offset1:208
	;; [unrolled: 1-line block ×4, first 2 shown]
	ds_read_b64 v[0:1], v44 offset:14960
	ds_read_b64 v[56:57], v42
	ds_read_b64 v[58:59], v43
	;; [unrolled: 1-line block ×3, first 2 shown]
	s_waitcnt lgkmcnt(6)
	v_mov_b32_e32 v32, v25
	s_waitcnt lgkmcnt(3)
	v_mov_b32_e32 v34, v1
	s_mov_b32 s4, 0x3f5db3d7
	s_waitcnt lgkmcnt(0)
	s_barrier
	s_waitcnt vmcnt(3)
	v_pk_mul_f32 v[62:63], v[24:25], v[4:5] op_sel:[0,1] op_sel_hi:[0,0]
	v_mov_b32_e32 v64, v7
	v_mov_b32_e32 v65, v6
	v_pk_fma_f32 v[32:33], v[32:33], v[4:5], v[62:63] neg_lo:[0,0,1] neg_hi:[0,0,1]
	v_pk_fma_f32 v[4:5], v[24:25], v[4:5], v[62:63] op_sel:[1,0,0]
	v_pk_mul_f32 v[24:25], v[0:1], v[64:65] op_sel_hi:[0,1]
	v_pk_fma_f32 v[34:35], v[34:35], v[6:7], v[24:25] neg_lo:[0,0,1] neg_hi:[0,0,1]
	v_pk_fma_f32 v[0:1], v[0:1], v[6:7], v[24:25] op_sel:[1,0,0]
	v_mov_b32_e32 v33, v5
	v_mov_b32_e32 v35, v1
	;; [unrolled: 1-line block ×6, first 2 shown]
	v_pk_add_f32 v[6:7], v[4:5], v[0:1]
	v_pk_add_f32 v[24:25], v[32:33], v[34:35] neg_lo:[0,1] neg_hi:[0,1]
	v_pk_fma_f32 v[6:7], v[6:7], 0.5, v[20:21] op_sel_hi:[1,0,1] neg_lo:[1,0,0] neg_hi:[1,0,0]
	v_pk_add_f32 v[4:5], v[20:21], v[4:5]
	v_pk_fma_f32 v[34:35], v[24:25], s[4:5], v[6:7] op_sel_hi:[1,0,1] neg_lo:[1,0,0] neg_hi:[1,0,0]
	v_pk_fma_f32 v[32:33], v[24:25], s[4:5], v[6:7] op_sel_hi:[1,0,1]
	v_mul_u32_u24_e32 v6, 0x660, v71
	v_lshlrev_b32_sdwa v7, v74, v72 dst_sel:DWORD dst_unused:UNUSED_PAD src0_sel:DWORD src1_sel:BYTE_0
	v_add3_u32 v45, 0, v6, v7
	v_mul_u32_u24_e32 v6, 0x660, v31
	v_lshlrev_b32_e32 v7, 3, v70
	v_add3_u32 v31, 0, v6, v7
	v_mul_u32_u24_e32 v6, 0x660, v68
	v_lshlrev_b32_e32 v7, 3, v69
	v_add3_u32 v62, 0, v6, v7
	s_waitcnt vmcnt(2)
	v_pk_mul_f32 v[6:7], v[8:9], v[50:51] op_sel:[0,1]
	v_pk_add_f32 v[0:1], v[4:5], v[0:1]
	v_pk_fma_f32 v[24:25], v[8:9], v[50:51], v[6:7] op_sel:[0,0,1] op_sel_hi:[1,1,0]
	v_pk_fma_f32 v[6:7], v[8:9], v[50:51], v[6:7] op_sel:[0,0,1] op_sel_hi:[1,0,0] neg_lo:[1,0,0] neg_hi:[1,0,0]
	v_mov_b32_e32 v4, v34
	v_mov_b32_e32 v6, v11
	;; [unrolled: 1-line block ×3, first 2 shown]
	v_pk_mul_f32 v[6:7], v[54:55], v[6:7] op_sel_hi:[1,0]
	v_mov_b32_e32 v5, v33
	v_pk_fma_f32 v[8:9], v[54:55], v[10:11], v[6:7] op_sel:[0,0,1] op_sel_hi:[1,1,0]
	v_pk_fma_f32 v[6:7], v[54:55], v[10:11], v[6:7] op_sel:[0,0,1] op_sel_hi:[1,0,0] neg_lo:[0,0,1] neg_hi:[0,0,1]
	s_waitcnt vmcnt(1)
	v_pk_mul_f32 v[10:11], v[12:13], v[48:49] op_sel:[0,1]
	v_mov_b32_e32 v9, v7
	v_pk_fma_f32 v[50:51], v[12:13], v[48:49], v[10:11] op_sel:[0,0,1] op_sel_hi:[1,1,0]
	v_pk_fma_f32 v[10:11], v[12:13], v[48:49], v[10:11] op_sel:[0,0,1] op_sel_hi:[1,0,0] neg_lo:[1,0,0] neg_hi:[1,0,0]
	v_pk_add_f32 v[6:7], v[56:57], v[24:25]
	v_mov_b32_e32 v51, v11
	v_pk_mul_f32 v[10:11], v[14:15], v[52:53] op_sel:[0,1]
	v_pk_add_f32 v[6:7], v[6:7], v[8:9]
	v_pk_fma_f32 v[12:13], v[14:15], v[52:53], v[10:11] op_sel:[0,0,1] op_sel_hi:[1,1,0]
	v_pk_fma_f32 v[10:11], v[14:15], v[52:53], v[10:11] op_sel:[0,0,1] op_sel_hi:[1,0,0] neg_lo:[1,0,0] neg_hi:[1,0,0]
	s_waitcnt vmcnt(0)
	v_pk_mul_f32 v[14:15], v[16:17], v[22:23] op_sel:[0,1]
	v_mov_b32_e32 v13, v11
	v_pk_fma_f32 v[48:49], v[16:17], v[22:23], v[14:15] op_sel:[0,0,1] op_sel_hi:[1,1,0]
	v_pk_fma_f32 v[14:15], v[16:17], v[22:23], v[14:15] op_sel:[0,0,1] op_sel_hi:[1,0,0] neg_lo:[1,0,0] neg_hi:[1,0,0]
	v_pk_add_f32 v[10:11], v[58:59], v[50:51]
	v_mov_b32_e32 v49, v15
	v_pk_mul_f32 v[14:15], v[18:19], v[26:27] op_sel:[0,1]
	v_pk_add_f32 v[10:11], v[10:11], v[12:13]
	v_pk_fma_f32 v[16:17], v[18:19], v[26:27], v[14:15] op_sel:[0,0,1] op_sel_hi:[1,1,0]
	v_pk_fma_f32 v[14:15], v[18:19], v[26:27], v[14:15] op_sel:[0,0,1] op_sel_hi:[1,0,0] neg_lo:[1,0,0] neg_hi:[1,0,0]
	s_nop 0
	v_mov_b32_e32 v17, v15
	v_pk_add_f32 v[14:15], v[60:61], v[48:49]
	v_pk_add_f32 v[18:19], v[48:49], v[16:17]
	;; [unrolled: 1-line block ×3, first 2 shown]
	v_pk_add_f32 v[16:17], v[48:49], v[16:17] neg_lo:[0,1] neg_hi:[0,1]
	v_pk_fma_f32 v[18:19], v[18:19], 0.5, v[60:61] op_sel_hi:[1,0,1] neg_lo:[1,0,0] neg_hi:[1,0,0]
	v_pk_mul_f32 v[16:17], v[16:17], s[4:5] op_sel_hi:[1,0]
                                        ; implicit-def: $vgpr48
	s_nop 0
	v_pk_add_f32 v[22:23], v[18:19], v[16:17] op_sel:[0,1] op_sel_hi:[1,0] neg_lo:[0,1] neg_hi:[0,1]
	v_pk_add_f32 v[16:17], v[18:19], v[16:17] op_sel:[0,1] op_sel_hi:[1,0]
	v_mov_b32_e32 v18, v22
	v_mov_b32_e32 v19, v17
	ds_write2_b64 v45, v[14:15], v[18:19] offset1:68
	v_pk_add_f32 v[14:15], v[50:51], v[12:13]
	v_pk_add_f32 v[12:13], v[50:51], v[12:13] neg_lo:[0,1] neg_hi:[0,1]
	v_mov_b32_e32 v17, v23
	v_pk_fma_f32 v[14:15], v[14:15], 0.5, v[58:59] op_sel_hi:[1,0,1] neg_lo:[1,0,0] neg_hi:[1,0,0]
	v_pk_mul_f32 v[12:13], v[12:13], s[4:5] op_sel_hi:[1,0]
	ds_write_b64 v45, v[16:17] offset:1088
	v_pk_add_f32 v[16:17], v[14:15], v[12:13] op_sel:[0,1] op_sel_hi:[1,0] neg_lo:[0,1] neg_hi:[0,1]
	v_pk_add_f32 v[12:13], v[14:15], v[12:13] op_sel:[0,1] op_sel_hi:[1,0]
	v_mov_b32_e32 v14, v16
	v_mov_b32_e32 v15, v13
	ds_write2_b64 v31, v[10:11], v[14:15] offset1:68
	v_pk_add_f32 v[10:11], v[24:25], v[8:9]
	v_pk_add_f32 v[8:9], v[24:25], v[8:9] neg_lo:[0,1] neg_hi:[0,1]
	v_mov_b32_e32 v13, v17
	v_pk_fma_f32 v[10:11], v[10:11], 0.5, v[56:57] op_sel_hi:[1,0,1] neg_lo:[1,0,0] neg_hi:[1,0,0]
	v_pk_mul_f32 v[8:9], v[8:9], s[4:5] op_sel_hi:[1,0]
	ds_write_b64 v31, v[12:13] offset:1088
	v_pk_add_f32 v[12:13], v[10:11], v[8:9] op_sel:[0,1] op_sel_hi:[1,0] neg_lo:[0,1] neg_hi:[0,1]
	v_pk_add_f32 v[8:9], v[10:11], v[8:9] op_sel:[0,1] op_sel_hi:[1,0]
	v_mov_b32_e32 v10, v12
	v_mov_b32_e32 v11, v9
	ds_write2_b64 v62, v[6:7], v[10:11] offset1:68
	v_mul_u32_u24_e32 v6, 0x660, v66
	v_lshlrev_b32_e32 v7, 3, v67
	v_mov_b32_e32 v9, v13
	v_add3_u32 v6, 0, v6, v7
	ds_write_b64 v62, v[8:9] offset:1088
	ds_write2_b64 v6, v[0:1], v[4:5] offset1:68
	v_mov_b32_e32 v0, v32
	v_mov_b32_e32 v1, v35
	ds_write_b64 v6, v[0:1] offset:1088
	s_waitcnt lgkmcnt(0)
	s_barrier
	ds_read2_b64 v[8:11], v44 offset1:204
	ds_read2_b64 v[24:27], v41 offset0:24 offset1:228
	ds_read2_b64 v[12:15], v29 offset0:48 offset1:252
	v_add_u32_e32 v31, 0x2600, v44
	v_add_u32_e32 v41, 0x3200, v44
	ds_read2_b64 v[16:19], v31 offset0:8 offset1:212
	ds_read2_b64 v[20:23], v41 offset0:32 offset1:236
                                        ; implicit-def: $vgpr6
	s_and_saveexec_b64 s[4:5], vcc
	s_cbranch_execz .LBB0_17
; %bb.16:
	v_add_u32_e32 v0, 0xb00, v44
	ds_read2_b64 v[50:53], v0 offset0:22 offset1:226
	ds_read2_b64 v[54:57], v29 offset0:14 offset1:218
	v_add_u32_e32 v0, 0x2400, v44
	ds_read2_b64 v[0:3], v0 offset0:38 offset1:242
	v_add_u32_e32 v4, 0x3100, v44
	ds_read2_b64 v[4:7], v4 offset0:30 offset1:234
	ds_read_b64 v[34:35], v43
	ds_read_b64 v[48:49], v44 offset:16048
	s_waitcnt lgkmcnt(4)
	v_accvgpr_write_b32 a0, v56
	v_accvgpr_write_b32 a2, v54
	s_waitcnt lgkmcnt(3)
	v_mov_b64_e32 v[238:239], v[0:1]
	v_accvgpr_write_b32 a1, v57
	v_accvgpr_write_b32 a3, v55
	v_mov_b64_e32 v[46:47], v[52:53]
	s_waitcnt lgkmcnt(1)
	v_mov_b32_e32 v33, v35
	v_mov_b32_e32 v32, v50
	;; [unrolled: 1-line block ×3, first 2 shown]
.LBB0_17:
	s_or_b64 exec, exec, s[4:5]
	v_mul_u32_u24_e32 v0, 9, v40
	v_lshlrev_b32_e32 v45, 3, v0
	global_load_dwordx4 v[50:53], v45, s[8:9] offset:1496
	global_load_dwordx4 v[54:57], v45, s[8:9] offset:1512
	;; [unrolled: 1-line block ×4, first 2 shown]
	global_load_dwordx2 v[0:1], v45, s[8:9] offset:1560
	s_mov_b32 s4, 0x3e9e377a
	s_mov_b32 s5, 0x3f167918
	;; [unrolled: 1-line block ×9, first 2 shown]
	s_waitcnt lgkmcnt(0)
	s_barrier
	s_mov_b32 s14, s11
	s_mov_b32 s15, s4
	;; [unrolled: 1-line block ×3, first 2 shown]
	s_waitcnt vmcnt(4)
	v_pk_mul_f32 v[66:67], v[50:51], v[10:11] op_sel:[0,1]
	v_pk_mul_f32 v[68:69], v[52:53], v[24:25] op_sel:[0,1]
	s_waitcnt vmcnt(3)
	v_pk_mul_f32 v[70:71], v[54:55], v[26:27] op_sel:[0,1]
	v_pk_mul_f32 v[72:73], v[56:57], v[12:13] op_sel:[0,1]
	s_waitcnt vmcnt(2)
	v_pk_mul_f32 v[74:75], v[58:59], v[14:15] op_sel:[0,1]
	v_pk_mul_f32 v[76:77], v[60:61], v[16:17] op_sel:[0,1]
	s_waitcnt vmcnt(1)
	v_pk_mul_f32 v[78:79], v[62:63], v[18:19] op_sel:[0,1]
	v_pk_mul_f32 v[80:81], v[64:65], v[20:21] op_sel:[0,1]
	s_waitcnt vmcnt(0)
	v_pk_mul_f32 v[82:83], v[22:23], v[0:1] op_sel:[0,1]
	v_pk_fma_f32 v[84:85], v[50:51], v[10:11], v[66:67] op_sel:[0,0,1] op_sel_hi:[1,0,0]
	v_pk_fma_f32 v[10:11], v[50:51], v[10:11], v[66:67] op_sel:[0,0,1] op_sel_hi:[1,0,0] neg_lo:[1,0,0] neg_hi:[1,0,0]
	v_pk_fma_f32 v[50:51], v[52:53], v[24:25], v[68:69] op_sel:[0,0,1] op_sel_hi:[1,1,0]
	v_pk_fma_f32 v[24:25], v[52:53], v[24:25], v[68:69] op_sel:[0,0,1] op_sel_hi:[1,0,0] neg_lo:[1,0,0] neg_hi:[1,0,0]
	;; [unrolled: 2-line block ×9, first 2 shown]
	v_mov_b32_e32 v55, v13
	v_mov_b32_e32 v59, v17
	;; [unrolled: 1-line block ×8, first 2 shown]
	v_pk_add_f32 v[26:27], v[12:13], v[16:17] neg_lo:[0,1] neg_hi:[0,1]
	v_mov_b32_e32 v57, v15
	v_mov_b32_e32 v61, v19
	;; [unrolled: 1-line block ×7, first 2 shown]
	v_pk_add_f32 v[20:21], v[56:57], v[60:61]
	v_pk_add_f32 v[24:25], v[56:57], v[60:61] neg_lo:[0,1] neg_hi:[0,1]
	v_pk_add_f32 v[12:13], v[16:17], v[12:13] neg_lo:[0,1] neg_hi:[0,1]
	v_pk_add_f32 v[26:27], v[26:27], v[10:11]
	v_mov_b32_e32 v18, v15
	v_pk_add_f32 v[22:23], v[52:53], v[64:65] neg_lo:[0,1] neg_hi:[0,1]
	v_pk_add_f32 v[16:17], v[84:85], v[52:53]
	v_fma_f32 v68, -0.5, v20, v84
	v_mov_b32_e32 v20, v13
	v_mov_b32_e32 v27, v25
	v_pk_add_f32 v[66:67], v[52:53], v[64:65]
	v_pk_add_f32 v[52:53], v[0:1], v[18:19] neg_lo:[0,1] neg_hi:[0,1]
	v_pk_add_f32 v[16:17], v[16:17], v[56:57]
	v_fma_f32 v57, -0.5, v21, v11
	v_fmamk_f32 v56, v23, 0xbf737871, v68
	v_pk_add_f32 v[12:13], v[12:13], v[20:21]
	v_pk_mul_f32 v[20:21], v[26:27], s[4:5]
	v_mov_b32_e32 v45, v84
	v_fmac_f32_e32 v68, 0x3f737871, v23
	v_mov_b32_e32 v13, v23
	v_sub_f32_e32 v23, v56, v21
	v_mov_b32_e32 v56, v53
	v_fmac_f32_e32 v45, -0.5, v66
	v_pk_add_f32 v[52:53], v[52:53], v[56:57]
	v_fmamk_f32 v10, v25, 0x3f737871, v45
	v_fmac_f32_e32 v45, 0xbf737871, v25
	v_pk_mul_f32 v[12:13], v[12:13], s[4:5]
	v_mov_b32_e32 v53, v24
	v_pk_add_f32 v[16:17], v[16:17], v[60:61]
	v_fmamk_f32 v60, v22, 0x3f737871, v57
	v_sub_f32_e32 v25, v10, v13
	v_add_f32_e32 v13, v13, v45
	v_pk_mul_f32 v[52:53], v[52:53], s[4:5]
	v_add_f32_e32 v26, v12, v25
	v_add_f32_e32 v12, v12, v13
	;; [unrolled: 1-line block ×3, first 2 shown]
	v_fmac_f32_e32 v57, 0xbf737871, v22
	v_add_f32_e32 v56, v52, v13
	v_sub_f32_e32 v13, v57, v53
	v_fmac_f32_e32 v11, -0.5, v67
	v_pk_add_f32 v[0:1], v[18:19], v[0:1] neg_lo:[0,1] neg_hi:[0,1]
	v_add_f32_e32 v52, v52, v13
	v_fmamk_f32 v13, v24, 0xbf737871, v11
	v_mov_b32_e32 v18, v1
	v_fmac_f32_e32 v11, 0x3f737871, v24
	v_pk_add_f32 v[24:25], v[54:55], v[58:59]
	v_pk_add_f32 v[60:61], v[50:51], v[62:63] neg_lo:[0,1] neg_hi:[0,1]
	v_pk_add_f32 v[16:17], v[16:17], v[64:65]
	v_pk_add_f32 v[0:1], v[0:1], v[18:19]
	v_pk_fma_f32 v[24:25], v[24:25], 0.5, v[8:9] op_sel_hi:[1,0,1] neg_lo:[1,0,0] neg_hi:[1,0,0]
	v_pk_mul_f32 v[64:65], v[60:61], s[18:19] op_sel_hi:[1,0]
	v_pk_add_f32 v[66:67], v[54:55], v[58:59] neg_lo:[0,1] neg_hi:[0,1]
	v_pk_add_f32 v[70:71], v[50:51], v[54:55] neg_lo:[0,1] neg_hi:[0,1]
	;; [unrolled: 1-line block ×3, first 2 shown]
	v_pk_add_f32 v[14:15], v[8:9], v[50:51]
	v_add_f32_e32 v21, v21, v68
	v_mov_b32_e32 v1, v22
	v_pk_mul_f32 v[68:69], v[66:67], s[20:21] op_sel_hi:[1,0]
	v_pk_add_f32 v[70:71], v[70:71], v[72:73]
	v_pk_add_f32 v[72:73], v[24:25], v[64:65] op_sel:[0,1] op_sel_hi:[1,0] neg_lo:[0,1] neg_hi:[0,1]
	v_pk_add_f32 v[24:25], v[24:25], v[64:65] op_sel:[0,1] op_sel_hi:[1,0]
	v_pk_add_f32 v[14:15], v[14:15], v[54:55]
	v_add_f32_e32 v10, v20, v23
	v_pk_mul_f32 v[0:1], v[0:1], s[4:5]
	v_pk_add_f32 v[24:25], v[24:25], v[68:69] op_sel:[0,1] op_sel_hi:[1,0]
	v_pk_add_f32 v[64:65], v[72:73], v[68:69] op_sel:[0,1] op_sel_hi:[1,0] neg_lo:[0,1] neg_hi:[0,1]
	v_pk_mul_f32 v[56:57], v[56:57], s[12:13] op_sel_hi:[0,1]
	v_pk_add_f32 v[14:15], v[14:15], v[58:59]
	v_add_f32_e32 v13, v1, v13
	v_sub_f32_e32 v1, v11, v1
	v_mov_b32_e32 v68, v64
	v_mov_b32_e32 v69, v25
	v_pk_fma_f32 v[72:73], v[10:11], s[16:17], v[56:57] neg_lo:[0,0,1] neg_hi:[0,0,1]
	v_pk_fma_f32 v[10:11], v[10:11], s[16:17], v[56:57] op_sel_hi:[0,1,1]
	v_pk_add_f32 v[14:15], v[14:15], v[62:63]
	v_pk_fma_f32 v[68:69], v[70:71], s[4:5], v[68:69] op_sel_hi:[1,0,1]
	v_mov_b32_e32 v73, v11
	v_pk_add_f32 v[22:23], v[14:15], v[16:17]
	v_pk_add_f32 v[10:11], v[68:69], v[72:73]
	v_add_f32_e32 v18, v0, v13
	ds_write2_b64 v44, v[22:23], v[10:11] offset1:204
	v_pk_add_f32 v[10:11], v[50:51], v[62:63]
	v_pk_add_f32 v[22:23], v[58:59], v[62:63] neg_lo:[0,1] neg_hi:[0,1]
	v_pk_fma_f32 v[8:9], v[10:11], 0.5, v[8:9] op_sel_hi:[1,0,1] neg_lo:[1,0,0] neg_hi:[1,0,0]
	v_pk_add_f32 v[10:11], v[54:55], v[50:51] neg_lo:[0,1] neg_hi:[0,1]
	v_pk_mul_f32 v[18:19], v[18:19], s[14:15] op_sel_hi:[0,1]
	v_pk_add_f32 v[10:11], v[10:11], v[22:23]
	v_pk_fma_f32 v[22:23], v[26:27], s[10:11], v[18:19] neg_lo:[0,0,1] neg_hi:[0,0,1]
	v_pk_fma_f32 v[18:19], v[26:27], s[10:11], v[18:19] op_sel_hi:[0,1,1]
	v_mov_b32_e32 v23, v19
	v_pk_mul_f32 v[18:19], v[66:67], s[18:19] op_sel_hi:[1,0]
	v_pk_mul_f32 v[26:27], v[60:61], s[20:21] op_sel_hi:[1,0]
	v_pk_add_f32 v[50:51], v[8:9], v[18:19] op_sel:[0,1] op_sel_hi:[1,0]
	v_pk_add_f32 v[8:9], v[8:9], v[18:19] op_sel:[0,1] op_sel_hi:[1,0] neg_lo:[0,1] neg_hi:[0,1]
	v_add_f32_e32 v0, v0, v1
	v_pk_add_f32 v[8:9], v[8:9], v[26:27] op_sel:[0,1] op_sel_hi:[1,0]
	v_pk_add_f32 v[18:19], v[50:51], v[26:27] op_sel:[0,1] op_sel_hi:[1,0] neg_lo:[0,1] neg_hi:[0,1]
	v_mov_b32_e32 v27, v9
	v_mov_b32_e32 v26, v18
	s_mov_b32 s18, 0xbe9e377a
	s_mov_b32 s19, s11
	v_pk_mul_f32 v[0:1], v[0:1], s[14:15] op_sel_hi:[0,1]
	v_mov_b32_e32 v9, v19
	v_pk_fma_f32 v[26:27], v[10:11], s[4:5], v[26:27] op_sel_hi:[1,0,1]
	v_pk_fma_f32 v[0:1], v[12:13], s[18:19], v[0:1] op_sel_hi:[0,1,1] neg_lo:[0,0,1] neg_hi:[0,0,1]
	v_pk_fma_f32 v[8:9], v[10:11], s[4:5], v[8:9] op_sel_hi:[1,0,1]
	v_pk_add_f32 v[50:51], v[26:27], v[22:23]
	v_pk_add_f32 v[10:11], v[8:9], v[0:1]
	v_add_u32_e32 v12, 0xc00, v44
	v_add_f32_e32 v20, v20, v21
	ds_write2_b64 v12, v[50:51], v[10:11] offset0:24 offset1:228
	s_mov_b32 s20, 0xbf4f1bbd
	s_mov_b32 s21, s5
	v_pk_mul_f32 v[10:11], v[52:53], s[12:13] op_sel_hi:[0,1]
	v_mov_b32_e32 v25, v65
	v_pk_fma_f32 v[10:11], v[20:21], s[20:21], v[10:11] op_sel_hi:[0,1,1] neg_lo:[0,0,1] neg_hi:[0,0,1]
	v_pk_fma_f32 v[12:13], v[70:71], s[4:5], v[24:25] op_sel_hi:[1,0,1]
	v_pk_add_f32 v[14:15], v[14:15], v[16:17] neg_lo:[0,1] neg_hi:[0,1]
	v_pk_add_f32 v[18:19], v[12:13], v[10:11]
	ds_write2_b64 v29, v[18:19], v[14:15] offset0:48 offset1:252
	v_pk_add_f32 v[14:15], v[68:69], v[72:73] neg_lo:[0,1] neg_hi:[0,1]
	v_pk_add_f32 v[16:17], v[26:27], v[22:23] neg_lo:[0,1] neg_hi:[0,1]
	;; [unrolled: 1-line block ×4, first 2 shown]
	ds_write2_b64 v31, v[14:15], v[16:17] offset0:8 offset1:212
	ds_write2_b64 v41, v[0:1], v[8:9] offset0:32 offset1:236
	s_and_saveexec_b64 s[22:23], vcc
	s_cbranch_execz .LBB0_19
; %bb.18:
	v_subrev_u32_e32 v0, 34, v40
	v_cndmask_b32_e32 v0, v0, v28, vcc
	v_lshl_add_u32 v0, v0, 3, v0
	v_mov_b32_e32 v1, 0
	v_lshl_add_u64 v[0:1], v[0:1], 3, s[8:9]
	global_load_dwordx4 v[8:11], v[0:1], off offset:1496
	global_load_dwordx4 v[12:15], v[0:1], off offset:1512
	;; [unrolled: 1-line block ×4, first 2 shown]
	global_load_dwordx2 v[24:25], v[0:1], off offset:1560
	v_accvgpr_read_b32 v67, a1
	v_accvgpr_read_b32 v69, a3
	v_mov_b32_e32 v0, v34
	v_mov_b32_e32 v26, v7
	;; [unrolled: 1-line block ×4, first 2 shown]
	v_accvgpr_read_b32 v66, a0
	v_accvgpr_read_b32 v68, a2
	v_mov_b32_e32 v52, v35
	v_mov_b32_e32 v1, v33
	s_mov_b32 s24, s11
	s_mov_b32 s26, s5
	s_waitcnt vmcnt(4)
	v_pk_mul_f32 v[54:55], v[46:47], v[10:11] op_sel:[1,0]
	s_waitcnt vmcnt(3)
	v_pk_mul_f32 v[56:57], v[66:67], v[14:15] op_sel:[1,0]
	s_waitcnt vmcnt(2)
	v_pk_mul_f32 v[26:27], v[26:27], v[18:19] op_sel_hi:[0,1]
	s_waitcnt vmcnt(1)
	v_pk_mul_f32 v[58:59], v[2:3], v[22:23] op_sel:[1,0]
	v_pk_mul_f32 v[60:61], v[68:69], v[12:13] op_sel:[1,0]
	;; [unrolled: 1-line block ×3, first 2 shown]
	s_waitcnt vmcnt(0)
	v_pk_mul_f32 v[34:35], v[34:35], v[24:25] op_sel_hi:[0,1]
	v_pk_mul_f32 v[50:51], v[50:51], v[16:17] op_sel_hi:[0,1]
	v_pk_fma_f32 v[64:65], v[46:47], v[10:11], v[54:55] op_sel:[0,0,1] op_sel_hi:[1,1,0]
	v_pk_fma_f32 v[10:11], v[46:47], v[10:11], v[54:55] op_sel:[0,0,1] op_sel_hi:[0,1,0] neg_lo:[1,0,0] neg_hi:[1,0,0]
	v_pk_fma_f32 v[46:47], v[66:67], v[14:15], v[56:57] op_sel:[0,0,1] op_sel_hi:[1,1,0]
	v_pk_fma_f32 v[14:15], v[66:67], v[14:15], v[56:57] op_sel:[0,0,1] op_sel_hi:[0,1,0] neg_lo:[1,0,0] neg_hi:[1,0,0]
	v_pk_fma_f32 v[54:55], v[6:7], v[18:19], v[26:27] op_sel:[0,0,1] op_sel_hi:[1,1,0]
	v_pk_fma_f32 v[6:7], v[6:7], v[18:19], v[26:27] op_sel:[0,0,1] op_sel_hi:[0,1,0] neg_lo:[1,0,0] neg_hi:[1,0,0]
	v_pk_fma_f32 v[18:19], v[2:3], v[22:23], v[58:59] op_sel:[0,0,1] op_sel_hi:[1,1,0]
	v_pk_fma_f32 v[2:3], v[2:3], v[22:23], v[58:59] op_sel:[0,0,1] op_sel_hi:[0,1,0] neg_lo:[1,0,0] neg_hi:[1,0,0]
	v_pk_fma_f32 v[22:23], v[68:69], v[12:13], v[60:61] op_sel:[0,0,1] op_sel_hi:[1,1,0]
	v_pk_fma_f32 v[12:13], v[68:69], v[12:13], v[60:61] op_sel:[0,0,1] op_sel_hi:[0,1,0] neg_lo:[1,0,0] neg_hi:[1,0,0]
	v_pk_fma_f32 v[26:27], v[238:239], v[20:21], v[62:63] op_sel:[0,0,1] op_sel_hi:[1,1,0]
	v_pk_fma_f32 v[20:21], v[238:239], v[20:21], v[62:63] op_sel:[0,0,1] op_sel_hi:[0,1,0] neg_lo:[1,0,0] neg_hi:[1,0,0]
	v_pk_fma_f32 v[56:57], v[48:49], v[24:25], v[34:35] op_sel:[0,0,1] op_sel_hi:[1,1,0]
	v_pk_fma_f32 v[24:25], v[48:49], v[24:25], v[34:35] op_sel:[0,0,1] op_sel_hi:[0,1,0] neg_lo:[1,0,0] neg_hi:[1,0,0]
	v_pk_fma_f32 v[34:35], v[4:5], v[16:17], v[50:51] op_sel:[0,0,1] op_sel_hi:[1,1,0]
	v_pk_fma_f32 v[4:5], v[4:5], v[16:17], v[50:51] op_sel:[0,0,1] op_sel_hi:[0,1,0] neg_lo:[1,0,0] neg_hi:[1,0,0]
	v_pk_mul_f32 v[52:53], v[52:53], v[8:9] op_sel_hi:[0,1]
	v_mov_b32_e32 v55, v7
	v_mov_b32_e32 v19, v3
	;; [unrolled: 1-line block ×10, first 2 shown]
	v_pk_fma_f32 v[16:17], v[32:33], v[8:9], v[52:53] op_sel:[0,0,1] op_sel_hi:[0,1,0]
	v_pk_fma_f32 v[8:9], v[32:33], v[8:9], v[52:53] op_sel:[0,0,1] op_sel_hi:[0,1,0] neg_lo:[1,0,0] neg_hi:[1,0,0]
	v_mov_b32_e32 v65, v11
	v_mov_b32_e32 v24, v13
	v_pk_add_f32 v[10:11], v[2:3], v[6:7] neg_lo:[0,1] neg_hi:[0,1]
	v_pk_add_f32 v[12:13], v[26:27], v[34:35]
	v_pk_add_f32 v[2:3], v[6:7], v[2:3] neg_lo:[0,1] neg_hi:[0,1]
	v_pk_add_f32 v[6:7], v[22:23], v[56:57]
	v_mov_b32_e32 v17, v9
	v_mov_b32_e32 v4, v21
	;; [unrolled: 1-line block ×3, first 2 shown]
	v_fma_f32 v31, -0.5, v13, v9
	v_fmac_f32_e32 v9, -0.5, v7
	v_mov_b32_e32 v29, v16
	v_pk_add_f32 v[20:21], v[26:27], v[34:35] neg_lo:[0,1] neg_hi:[0,1]
	v_pk_add_f32 v[32:33], v[24:25], v[4:5] neg_lo:[0,1] neg_hi:[0,1]
	;; [unrolled: 1-line block ×3, first 2 shown]
	v_fma_f32 v25, -0.5, v12, v16
	v_mov_b32_e32 v24, v3
	v_pk_add_f32 v[10:11], v[10:11], v[8:9]
	v_mov_b32_e32 v47, v15
	v_pk_add_f32 v[14:15], v[22:23], v[56:57] neg_lo:[0,1] neg_hi:[0,1]
	v_mov_b32_e32 v12, v33
	v_fmac_f32_e32 v29, -0.5, v6
	v_mov_b32_e32 v6, v5
	v_pk_add_f32 v[2:3], v[2:3], v[24:25]
	v_mov_b32_e32 v11, v21
	v_fmamk_f32 v8, v15, 0x3f737871, v25
	v_pk_add_f32 v[12:13], v[32:33], v[12:13]
	v_pk_add_f32 v[4:5], v[4:5], v[6:7]
	v_mov_b32_e32 v3, v15
	v_pk_mul_f32 v[6:7], v[10:11], s[4:5]
	v_fmamk_f32 v24, v21, 0xbf737871, v29
	v_mov_b32_e32 v13, v20
	v_pk_mul_f32 v[2:3], v[2:3], s[4:5]
	v_add_f32_e32 v5, v7, v8
	v_pk_mul_f32 v[10:11], v[12:13], s[4:5]
	v_add_f32_e32 v13, v3, v24
	v_add_f32_e32 v8, v6, v5
	v_mov_b32_e32 v5, v14
	v_fmac_f32_e32 v29, 0x3f737871, v21
	v_add_f32_e32 v24, v2, v13
	v_fmamk_f32 v13, v20, 0x3f737871, v9
	v_pk_mul_f32 v[4:5], v[4:5], s[4:5]
	v_sub_f32_e32 v3, v29, v3
	v_fmac_f32_e32 v9, 0xbf737871, v20
	v_pk_add_f32 v[16:17], v[16:17], v[22:23]
	v_fmamk_f32 v32, v14, 0xbf737871, v31
	v_sub_f32_e32 v13, v13, v5
	v_add_f32_e32 v2, v2, v3
	v_add_f32_e32 v3, v5, v9
	v_fmac_f32_e32 v25, 0xbf737871, v15
	v_pk_add_f32 v[16:17], v[16:17], v[26:27]
	v_sub_f32_e32 v12, v32, v11
	v_add_f32_e32 v32, v4, v13
	v_add_f32_e32 v4, v4, v3
	v_sub_f32_e32 v3, v25, v7
	v_fmac_f32_e32 v31, 0x3f737871, v14
	v_pk_add_f32 v[16:17], v[16:17], v[34:35]
	v_pk_add_f32 v[22:23], v[46:47], v[18:19]
	v_pk_add_f32 v[26:27], v[64:65], v[54:55] neg_lo:[0,1] neg_hi:[0,1]
	v_add_f32_e32 v6, v6, v3
	v_add_f32_e32 v3, v11, v31
	v_pk_add_f32 v[16:17], v[16:17], v[56:57]
	v_pk_fma_f32 v[22:23], v[22:23], 0.5, v[0:1] op_sel_hi:[1,0,1] neg_lo:[1,0,0] neg_hi:[1,0,0]
	v_pk_mul_f32 v[34:35], v[26:27], s[24:25] op_sel_hi:[1,0]
	v_pk_add_f32 v[48:49], v[46:47], v[18:19] neg_lo:[0,1] neg_hi:[0,1]
	v_pk_add_f32 v[52:53], v[64:65], v[46:47] neg_lo:[0,1] neg_hi:[0,1]
	v_pk_add_f32 v[56:57], v[54:55], v[18:19] neg_lo:[0,1] neg_hi:[0,1]
	v_add_f32_e32 v12, v10, v12
	v_add_f32_e32 v10, v10, v3
	v_pk_add_f32 v[14:15], v[0:1], v[64:65]
	v_pk_mul_f32 v[50:51], v[48:49], s[26:27] op_sel_hi:[1,0]
	v_pk_add_f32 v[52:53], v[52:53], v[56:57]
	v_pk_add_f32 v[56:57], v[22:23], v[34:35] op_sel:[0,1] op_sel_hi:[1,0] neg_lo:[0,1] neg_hi:[0,1]
	v_pk_add_f32 v[22:23], v[22:23], v[34:35] op_sel:[0,1] op_sel_hi:[1,0]
	v_pk_add_f32 v[14:15], v[14:15], v[46:47]
	v_pk_add_f32 v[22:23], v[22:23], v[50:51] op_sel:[0,1] op_sel_hi:[1,0]
	v_pk_add_f32 v[34:35], v[56:57], v[50:51] op_sel:[0,1] op_sel_hi:[1,0] neg_lo:[0,1] neg_hi:[0,1]
	v_pk_mul_f32 v[10:11], v[10:11], s[12:13] op_sel_hi:[0,1]
	v_pk_add_f32 v[14:15], v[14:15], v[18:19]
	v_mov_b32_e32 v50, v34
	v_mov_b32_e32 v51, v23
	v_pk_fma_f32 v[56:57], v[6:7], s[16:17], v[10:11] neg_lo:[0,0,1] neg_hi:[0,0,1]
	v_pk_fma_f32 v[6:7], v[6:7], s[16:17], v[10:11] op_sel_hi:[0,1,1]
	v_pk_add_f32 v[14:15], v[14:15], v[54:55]
	v_pk_fma_f32 v[50:51], v[52:53], s[4:5], v[50:51] op_sel_hi:[1,0,1]
	v_mov_b32_e32 v57, v7
	v_pk_add_f32 v[20:21], v[14:15], v[16:17]
	v_pk_add_f32 v[6:7], v[50:51], v[56:57]
	v_add_u32_e32 v3, 0x400, v44
	ds_write2_b64 v3, v[20:21], v[6:7] offset0:42 offset1:246
	v_pk_add_f32 v[6:7], v[46:47], v[64:65] neg_lo:[0,1] neg_hi:[0,1]
	v_pk_add_f32 v[10:11], v[18:19], v[54:55] neg_lo:[0,1] neg_hi:[0,1]
	v_pk_mul_f32 v[4:5], v[4:5], s[14:15] op_sel_hi:[0,1]
	v_pk_add_f32 v[6:7], v[6:7], v[10:11]
	v_pk_add_f32 v[10:11], v[64:65], v[54:55]
	v_pk_mul_f32 v[20:21], v[32:33], s[14:15] op_sel_hi:[0,1]
	v_pk_fma_f32 v[0:1], v[10:11], 0.5, v[0:1] op_sel_hi:[1,0,1] neg_lo:[1,0,0] neg_hi:[1,0,0]
	v_pk_fma_f32 v[10:11], v[2:3], s[10:11], v[4:5] neg_lo:[0,0,1] neg_hi:[0,0,1]
	v_pk_fma_f32 v[2:3], v[2:3], s[10:11], v[4:5] op_sel_hi:[0,1,1]
	v_mov_b32_e32 v11, v3
	v_pk_mul_f32 v[2:3], v[48:49], s[24:25] op_sel_hi:[1,0]
	v_pk_mul_f32 v[4:5], v[26:27], s[26:27] op_sel_hi:[1,0]
	v_pk_add_f32 v[18:19], v[0:1], v[2:3] op_sel:[0,1] op_sel_hi:[1,0]
	v_pk_add_f32 v[0:1], v[0:1], v[2:3] op_sel:[0,1] op_sel_hi:[1,0] neg_lo:[0,1] neg_hi:[0,1]
	v_pk_add_f32 v[2:3], v[18:19], v[4:5] op_sel:[0,1] op_sel_hi:[1,0] neg_lo:[0,1] neg_hi:[0,1]
	v_pk_add_f32 v[0:1], v[0:1], v[4:5] op_sel:[0,1] op_sel_hi:[1,0]
	v_mov_b32_e32 v4, v2
	v_mov_b32_e32 v5, v1
	;; [unrolled: 1-line block ×3, first 2 shown]
	v_pk_fma_f32 v[4:5], v[6:7], s[4:5], v[4:5] op_sel_hi:[1,0,1]
	v_pk_fma_f32 v[20:21], v[24:25], s[18:19], v[20:21] op_sel_hi:[0,1,1] neg_lo:[0,0,1] neg_hi:[0,0,1]
	v_pk_fma_f32 v[0:1], v[6:7], s[4:5], v[0:1] op_sel_hi:[1,0,1]
	v_pk_add_f32 v[18:19], v[4:5], v[10:11]
	v_pk_add_f32 v[2:3], v[0:1], v[20:21]
	v_add_u32_e32 v6, 0x1200, v44
	ds_write2_b64 v6, v[18:19], v[2:3] offset0:2 offset1:206
	v_pk_mul_f32 v[2:3], v[12:13], s[12:13] op_sel_hi:[0,1]
	v_mov_b32_e32 v23, v35
	v_pk_fma_f32 v[2:3], v[8:9], s[20:21], v[2:3] op_sel_hi:[0,1,1] neg_lo:[0,0,1] neg_hi:[0,0,1]
	v_pk_fma_f32 v[6:7], v[52:53], s[4:5], v[22:23] op_sel_hi:[1,0,1]
	v_pk_add_f32 v[12:13], v[14:15], v[16:17] neg_lo:[0,1] neg_hi:[0,1]
	v_pk_add_f32 v[8:9], v[6:7], v[2:3]
	v_add_u32_e32 v14, 0x1e00, v44
	ds_write2_b64 v14, v[8:9], v[12:13] offset0:26 offset1:230
	v_pk_add_f32 v[8:9], v[50:51], v[56:57] neg_lo:[0,1] neg_hi:[0,1]
	v_pk_add_f32 v[4:5], v[4:5], v[10:11] neg_lo:[0,1] neg_hi:[0,1]
	v_add_u32_e32 v10, 0x2a00, v44
	ds_write2_b64 v10, v[8:9], v[4:5] offset0:50 offset1:254
	v_pk_add_f32 v[0:1], v[0:1], v[20:21] neg_lo:[0,1] neg_hi:[0,1]
	v_pk_add_f32 v[2:3], v[6:7], v[2:3] neg_lo:[0,1] neg_hi:[0,1]
	v_add_u32_e32 v4, 0x3800, v44
	ds_write2_b64 v4, v[0:1], v[2:3] offset0:10 offset1:214
.LBB0_19:
	s_or_b64 exec, exec, s[22:23]
	s_waitcnt lgkmcnt(0)
	s_barrier
	ds_read_b64 v[6:7], v44
	s_add_u32 s4, s8, 0x3f38
	v_lshlrev_b32_e32 v0, 3, v40
	s_addc_u32 s5, s9, 0
	v_sub_u32_e32 v8, 0, v0
	v_cmp_ne_u32_e32 vcc, 0, v40
                                        ; implicit-def: $vgpr3
                                        ; implicit-def: $vgpr0_vgpr1
                                        ; implicit-def: $vgpr4_vgpr5
	s_and_saveexec_b64 s[8:9], vcc
	s_xor_b64 s[8:9], exec, s[8:9]
	s_cbranch_execz .LBB0_21
; %bb.20:
	v_mov_b32_e32 v41, 0
	v_lshl_add_u64 v[0:1], v[40:41], 3, s[4:5]
	global_load_dwordx2 v[0:1], v[0:1], off
	ds_read_b64 v[2:3], v8 offset:16320
	v_mov_b32_e32 v5, 0.5
	v_mov_b32_e32 v10, v5
	s_waitcnt lgkmcnt(0)
	v_pk_add_f32 v[12:13], v[2:3], v[6:7]
	v_pk_add_f32 v[2:3], v[6:7], v[2:3] neg_lo:[0,1] neg_hi:[0,1]
	v_mov_b32_e32 v6, v13
	v_mov_b32_e32 v7, v2
	v_pk_mul_f32 v[6:7], v[6:7], 0.5 op_sel_hi:[1,0]
	s_waitcnt vmcnt(0)
	v_mov_b32_e32 v4, v1
	v_mov_b32_e32 v2, v7
	;; [unrolled: 1-line block ×4, first 2 shown]
	v_pk_mul_f32 v[2:3], v[4:5], v[2:3]
	v_pk_mul_f32 v[14:15], v[0:1], v[6:7] op_sel_hi:[0,1]
	v_pk_fma_f32 v[4:5], v[12:13], v[10:11], v[2:3]
	v_pk_fma_f32 v[10:11], v[12:13], v[10:11], v[2:3] neg_lo:[0,0,1] neg_hi:[0,0,1]
	v_pk_fma_f32 v[2:3], v[0:1], v[6:7], v[4:5] op_sel_hi:[0,1,1] neg_lo:[1,0,0] neg_hi:[1,0,0]
	v_pk_fma_f32 v[0:1], v[0:1], v[6:7], v[10:11] op_sel_hi:[0,1,1] neg_lo:[1,0,0] neg_hi:[1,0,0]
	v_add_f32_e32 v2, v4, v14
	v_mov_b64_e32 v[4:5], v[40:41]
                                        ; implicit-def: $vgpr6_vgpr7
.LBB0_21:
	s_andn2_saveexec_b64 s[8:9], s[8:9]
	s_cbranch_execz .LBB0_23
; %bb.22:
	s_waitcnt lgkmcnt(0)
	v_mov_b32_e32 v0, v7
	v_pk_add_f32 v[0:1], v[6:7], v[0:1] neg_lo:[0,1] neg_hi:[0,1]
	v_add_f32_e32 v2, v7, v6
	v_mov_b32_e32 v1, 0
	ds_read_b32 v3, v1 offset:8164
	v_mov_b64_e32 v[4:5], 0
	s_waitcnt lgkmcnt(0)
	v_xor_b32_e32 v3, 0x80000000, v3
	ds_write_b32 v1, v3 offset:8164
	v_mov_b32_e32 v3, v1
.LBB0_23:
	s_or_b64 exec, exec, s[8:9]
	v_mov_b32_e32 v29, 0
	s_waitcnt lgkmcnt(0)
	v_lshl_add_u64 v[6:7], v[28:29], 3, s[4:5]
	global_load_dwordx2 v[6:7], v[6:7], off
	v_mov_b32_e32 v31, v29
	v_lshl_add_u64 v[10:11], v[30:31], 3, s[4:5]
	global_load_dwordx2 v[10:11], v[10:11], off
	v_lshl_add_u64 v[4:5], v[4:5], 3, s[4:5]
	global_load_dwordx2 v[12:13], v[4:5], off offset:4080
	s_movk_i32 s4, 0x1000
	v_add_co_u32_e32 v4, vcc, s4, v4
	v_mov_b32_e32 v17, 0.5
	s_nop 0
	v_addc_co_u32_e32 v5, vcc, 0, v5, vcc
	global_load_dwordx2 v[14:15], v[4:5], off offset:1344
	ds_write_b64 v44, v[2:3]
	ds_write_b64 v8, v[0:1] offset:16320
	ds_read_b64 v[0:1], v43
	ds_read_b64 v[2:3], v8 offset:14960
	global_load_dwordx2 v[4:5], v[4:5], off offset:2704
	v_mov_b32_e32 v18, v17
	s_waitcnt lgkmcnt(0)
	v_pk_add_f32 v[20:21], v[0:1], v[2:3]
	v_pk_add_f32 v[0:1], v[0:1], v[2:3] neg_lo:[0,1] neg_hi:[0,1]
	v_mov_b32_e32 v2, v21
	v_mov_b32_e32 v3, v0
	v_pk_mul_f32 v[2:3], v[2:3], 0.5 op_sel_hi:[1,0]
	s_waitcnt vmcnt(4)
	v_mov_b32_e32 v19, v7
	v_mov_b32_e32 v21, v2
	v_mov_b32_e32 v0, v3
	v_mov_b32_e32 v16, v7
	v_pk_mul_f32 v[18:19], v[20:21], v[18:19]
	s_nop 0
	v_pk_fma_f32 v[20:21], v[16:17], v[0:1], v[18:19] neg_lo:[1,0,0] neg_hi:[1,0,0]
	v_pk_fma_f32 v[0:1], v[16:17], v[0:1], v[18:19]
	v_pk_fma_f32 v[18:19], v[6:7], v[2:3], v[20:21] op_sel_hi:[0,1,1] neg_lo:[1,0,0] neg_hi:[1,0,0]
	v_pk_fma_f32 v[20:21], v[6:7], v[2:3], v[0:1] op_sel_hi:[0,1,1]
	v_pk_fma_f32 v[0:1], v[6:7], v[2:3], v[0:1] op_sel_hi:[0,1,1] neg_lo:[1,0,0] neg_hi:[1,0,0]
	v_mov_b32_e32 v21, v1
	ds_write_b64 v43, v[20:21]
	ds_write_b64 v8, v[18:19] offset:14960
	ds_read_b64 v[0:1], v42
	ds_read_b64 v[2:3], v8 offset:13600
	v_mov_b32_e32 v6, v17
	s_waitcnt vmcnt(3)
	v_mov_b32_e32 v7, v11
	v_mov_b32_e32 v16, v11
	s_waitcnt lgkmcnt(0)
	v_pk_add_f32 v[18:19], v[0:1], v[2:3]
	v_pk_add_f32 v[0:1], v[0:1], v[2:3] neg_lo:[0,1] neg_hi:[0,1]
	v_mov_b32_e32 v2, v19
	v_mov_b32_e32 v3, v0
	v_pk_mul_f32 v[2:3], v[2:3], 0.5 op_sel_hi:[1,0]
	s_nop 0
	v_mov_b32_e32 v19, v2
	v_mov_b32_e32 v0, v3
	v_pk_mul_f32 v[6:7], v[18:19], v[6:7]
	s_nop 0
	v_pk_fma_f32 v[18:19], v[16:17], v[0:1], v[6:7] neg_lo:[1,0,0] neg_hi:[1,0,0]
	v_pk_fma_f32 v[0:1], v[16:17], v[0:1], v[6:7]
	v_pk_fma_f32 v[6:7], v[10:11], v[2:3], v[18:19] op_sel_hi:[0,1,1] neg_lo:[1,0,0] neg_hi:[1,0,0]
	v_pk_fma_f32 v[18:19], v[10:11], v[2:3], v[0:1] op_sel_hi:[0,1,1]
	v_pk_fma_f32 v[0:1], v[10:11], v[2:3], v[0:1] op_sel_hi:[0,1,1] neg_lo:[1,0,0] neg_hi:[1,0,0]
	v_mov_b32_e32 v19, v1
	ds_write_b64 v42, v[18:19]
	ds_write_b64 v8, v[6:7] offset:13600
	ds_read_b64 v[0:1], v44 offset:4080
	ds_read_b64 v[2:3], v8 offset:12240
	v_mov_b32_e32 v6, v17
	s_waitcnt vmcnt(2)
	v_mov_b32_e32 v7, v13
	v_mov_b32_e32 v16, v13
	s_waitcnt lgkmcnt(0)
	v_pk_add_f32 v[10:11], v[0:1], v[2:3]
	v_pk_add_f32 v[0:1], v[0:1], v[2:3] neg_lo:[0,1] neg_hi:[0,1]
	v_mov_b32_e32 v2, v11
	v_mov_b32_e32 v3, v0
	v_pk_mul_f32 v[2:3], v[2:3], 0.5 op_sel_hi:[1,0]
	s_nop 0
	v_mov_b32_e32 v11, v2
	v_mov_b32_e32 v0, v3
	v_pk_mul_f32 v[6:7], v[10:11], v[6:7]
	s_nop 0
	v_pk_fma_f32 v[10:11], v[16:17], v[0:1], v[6:7] neg_lo:[1,0,0] neg_hi:[1,0,0]
	v_pk_fma_f32 v[0:1], v[16:17], v[0:1], v[6:7]
	v_pk_fma_f32 v[6:7], v[12:13], v[2:3], v[10:11] op_sel_hi:[0,1,1] neg_lo:[1,0,0] neg_hi:[1,0,0]
	v_pk_fma_f32 v[10:11], v[12:13], v[2:3], v[0:1] op_sel_hi:[0,1,1]
	v_pk_fma_f32 v[0:1], v[12:13], v[2:3], v[0:1] op_sel_hi:[0,1,1] neg_lo:[1,0,0] neg_hi:[1,0,0]
	v_mov_b32_e32 v11, v1
	ds_write_b64 v44, v[10:11] offset:4080
	ds_write_b64 v8, v[6:7] offset:12240
	ds_read_b64 v[0:1], v44 offset:5440
	ds_read_b64 v[2:3], v8 offset:10880
	v_mov_b32_e32 v6, v17
	s_waitcnt vmcnt(1)
	v_mov_b32_e32 v7, v15
	v_mov_b32_e32 v16, v15
	s_waitcnt lgkmcnt(0)
	v_pk_add_f32 v[10:11], v[0:1], v[2:3]
	v_pk_add_f32 v[0:1], v[0:1], v[2:3] neg_lo:[0,1] neg_hi:[0,1]
	v_mov_b32_e32 v2, v11
	v_mov_b32_e32 v3, v0
	v_pk_mul_f32 v[2:3], v[2:3], 0.5 op_sel_hi:[1,0]
	s_nop 0
	v_mov_b32_e32 v11, v2
	v_mov_b32_e32 v0, v3
	v_pk_mul_f32 v[6:7], v[10:11], v[6:7]
	s_nop 0
	v_pk_fma_f32 v[10:11], v[16:17], v[0:1], v[6:7] neg_lo:[1,0,0] neg_hi:[1,0,0]
	v_pk_fma_f32 v[0:1], v[16:17], v[0:1], v[6:7]
	v_pk_fma_f32 v[6:7], v[14:15], v[2:3], v[10:11] op_sel_hi:[0,1,1] neg_lo:[1,0,0] neg_hi:[1,0,0]
	v_pk_fma_f32 v[10:11], v[14:15], v[2:3], v[0:1] op_sel_hi:[0,1,1]
	v_pk_fma_f32 v[0:1], v[14:15], v[2:3], v[0:1] op_sel_hi:[0,1,1] neg_lo:[1,0,0] neg_hi:[1,0,0]
	v_mov_b32_e32 v11, v1
	ds_write_b64 v44, v[10:11] offset:5440
	;; [unrolled: 25-line block ×3, first 2 shown]
	ds_write_b64 v8, v[6:7] offset:9520
	s_waitcnt lgkmcnt(0)
	s_barrier
	s_and_saveexec_b64 s[4:5], s[0:1]
	s_cbranch_execz .LBB0_26
; %bb.24:
	v_mul_lo_u32 v2, s3, v38
	v_mul_lo_u32 v3, s2, v39
	v_mad_u64_u32 v[0:1], s[0:1], s2, v38, 0
	v_lshl_add_u32 v10, v40, 3, 0
	v_add3_u32 v1, v1, v3, v2
	ds_read2_b64 v[2:5], v10 offset1:170
	v_lshl_add_u64 v[0:1], v[0:1], 3, s[6:7]
	v_mov_b32_e32 v41, v29
	v_lshl_add_u64 v[0:1], v[36:37], 3, v[0:1]
	v_lshl_add_u64 v[6:7], v[40:41], 3, v[0:1]
	s_waitcnt lgkmcnt(0)
	global_store_dwordx2 v[6:7], v[2:3], off
	v_add_u32_e32 v2, 0x800, v10
	ds_read2_b64 v[6:9], v2 offset0:84 offset1:254
	v_add_u32_e32 v28, 0xaa, v40
	v_lshl_add_u64 v[2:3], v[28:29], 3, v[0:1]
	v_add_u32_e32 v28, 0x154, v40
	global_store_dwordx2 v[2:3], v[4:5], off
	v_lshl_add_u64 v[2:3], v[28:29], 3, v[0:1]
	s_waitcnt lgkmcnt(0)
	global_store_dwordx2 v[2:3], v[6:7], off
	v_add_u32_e32 v2, 0x1400, v10
	ds_read2_b64 v[2:5], v2 offset0:40 offset1:210
	v_add_u32_e32 v28, 0x1fe, v40
	v_lshl_add_u64 v[6:7], v[28:29], 3, v[0:1]
	v_add_u32_e32 v28, 0x2a8, v40
	global_store_dwordx2 v[6:7], v[8:9], off
	;; [unrolled: 9-line block ×5, first 2 shown]
	v_lshl_add_u64 v[2:3], v[28:29], 3, v[0:1]
	v_add_u32_e32 v28, 0x74e, v40
	s_movk_i32 s0, 0xa9
	s_waitcnt lgkmcnt(0)
	global_store_dwordx2 v[2:3], v[6:7], off
	v_lshl_add_u64 v[2:3], v[28:29], 3, v[0:1]
	v_cmp_eq_u32_e32 vcc, s0, v40
	global_store_dwordx2 v[2:3], v[8:9], off
	s_and_b64 exec, exec, vcc
	s_cbranch_execz .LBB0_26
; %bb.25:
	v_mov_b32_e32 v2, 0
	ds_read_b64 v[2:3], v2 offset:16320
	v_add_co_u32_e32 v0, vcc, 0x3000, v0
	s_nop 1
	v_addc_co_u32_e32 v1, vcc, 0, v1, vcc
	s_waitcnt lgkmcnt(0)
	global_store_dwordx2 v[0:1], v[2:3], off offset:4032
.LBB0_26:
	s_endpgm
	.section	.rodata,"a",@progbits
	.p2align	6, 0x0
	.amdhsa_kernel fft_rtc_back_len2040_factors_17_4_3_10_wgs_170_tpt_170_halfLds_sp_op_CI_CI_unitstride_sbrr_R2C_dirReg
		.amdhsa_group_segment_fixed_size 0
		.amdhsa_private_segment_fixed_size 0
		.amdhsa_kernarg_size 104
		.amdhsa_user_sgpr_count 2
		.amdhsa_user_sgpr_dispatch_ptr 0
		.amdhsa_user_sgpr_queue_ptr 0
		.amdhsa_user_sgpr_kernarg_segment_ptr 1
		.amdhsa_user_sgpr_dispatch_id 0
		.amdhsa_user_sgpr_kernarg_preload_length 0
		.amdhsa_user_sgpr_kernarg_preload_offset 0
		.amdhsa_user_sgpr_private_segment_size 0
		.amdhsa_uses_dynamic_stack 0
		.amdhsa_enable_private_segment 0
		.amdhsa_system_sgpr_workgroup_id_x 1
		.amdhsa_system_sgpr_workgroup_id_y 0
		.amdhsa_system_sgpr_workgroup_id_z 0
		.amdhsa_system_sgpr_workgroup_info 0
		.amdhsa_system_vgpr_workitem_id 0
		.amdhsa_next_free_vgpr 262
		.amdhsa_next_free_sgpr 60
		.amdhsa_accum_offset 256
		.amdhsa_reserve_vcc 1
		.amdhsa_float_round_mode_32 0
		.amdhsa_float_round_mode_16_64 0
		.amdhsa_float_denorm_mode_32 3
		.amdhsa_float_denorm_mode_16_64 3
		.amdhsa_dx10_clamp 1
		.amdhsa_ieee_mode 1
		.amdhsa_fp16_overflow 0
		.amdhsa_tg_split 0
		.amdhsa_exception_fp_ieee_invalid_op 0
		.amdhsa_exception_fp_denorm_src 0
		.amdhsa_exception_fp_ieee_div_zero 0
		.amdhsa_exception_fp_ieee_overflow 0
		.amdhsa_exception_fp_ieee_underflow 0
		.amdhsa_exception_fp_ieee_inexact 0
		.amdhsa_exception_int_div_zero 0
	.end_amdhsa_kernel
	.text
.Lfunc_end0:
	.size	fft_rtc_back_len2040_factors_17_4_3_10_wgs_170_tpt_170_halfLds_sp_op_CI_CI_unitstride_sbrr_R2C_dirReg, .Lfunc_end0-fft_rtc_back_len2040_factors_17_4_3_10_wgs_170_tpt_170_halfLds_sp_op_CI_CI_unitstride_sbrr_R2C_dirReg
                                        ; -- End function
	.section	.AMDGPU.csdata,"",@progbits
; Kernel info:
; codeLenInByte = 12964
; NumSgprs: 66
; NumVgprs: 256
; NumAgprs: 6
; TotalNumVgprs: 262
; ScratchSize: 0
; MemoryBound: 0
; FloatMode: 240
; IeeeMode: 1
; LDSByteSize: 0 bytes/workgroup (compile time only)
; SGPRBlocks: 8
; VGPRBlocks: 32
; NumSGPRsForWavesPerEU: 66
; NumVGPRsForWavesPerEU: 262
; AccumOffset: 256
; Occupancy: 1
; WaveLimiterHint : 1
; COMPUTE_PGM_RSRC2:SCRATCH_EN: 0
; COMPUTE_PGM_RSRC2:USER_SGPR: 2
; COMPUTE_PGM_RSRC2:TRAP_HANDLER: 0
; COMPUTE_PGM_RSRC2:TGID_X_EN: 1
; COMPUTE_PGM_RSRC2:TGID_Y_EN: 0
; COMPUTE_PGM_RSRC2:TGID_Z_EN: 0
; COMPUTE_PGM_RSRC2:TIDIG_COMP_CNT: 0
; COMPUTE_PGM_RSRC3_GFX90A:ACCUM_OFFSET: 63
; COMPUTE_PGM_RSRC3_GFX90A:TG_SPLIT: 0
	.text
	.p2alignl 6, 3212836864
	.fill 256, 4, 3212836864
	.type	__hip_cuid_22fd1256bad13e5e,@object ; @__hip_cuid_22fd1256bad13e5e
	.section	.bss,"aw",@nobits
	.globl	__hip_cuid_22fd1256bad13e5e
__hip_cuid_22fd1256bad13e5e:
	.byte	0                               ; 0x0
	.size	__hip_cuid_22fd1256bad13e5e, 1

	.ident	"AMD clang version 19.0.0git (https://github.com/RadeonOpenCompute/llvm-project roc-6.4.0 25133 c7fe45cf4b819c5991fe208aaa96edf142730f1d)"
	.section	".note.GNU-stack","",@progbits
	.addrsig
	.addrsig_sym __hip_cuid_22fd1256bad13e5e
	.amdgpu_metadata
---
amdhsa.kernels:
  - .agpr_count:     6
    .args:
      - .actual_access:  read_only
        .address_space:  global
        .offset:         0
        .size:           8
        .value_kind:     global_buffer
      - .offset:         8
        .size:           8
        .value_kind:     by_value
      - .actual_access:  read_only
        .address_space:  global
        .offset:         16
        .size:           8
        .value_kind:     global_buffer
      - .actual_access:  read_only
        .address_space:  global
        .offset:         24
        .size:           8
        .value_kind:     global_buffer
      - .actual_access:  read_only
        .address_space:  global
        .offset:         32
        .size:           8
        .value_kind:     global_buffer
      - .offset:         40
        .size:           8
        .value_kind:     by_value
      - .actual_access:  read_only
        .address_space:  global
        .offset:         48
        .size:           8
        .value_kind:     global_buffer
      - .actual_access:  read_only
        .address_space:  global
        .offset:         56
        .size:           8
        .value_kind:     global_buffer
      - .offset:         64
        .size:           4
        .value_kind:     by_value
      - .actual_access:  read_only
        .address_space:  global
        .offset:         72
        .size:           8
        .value_kind:     global_buffer
      - .actual_access:  read_only
        .address_space:  global
        .offset:         80
        .size:           8
        .value_kind:     global_buffer
      - .actual_access:  read_only
        .address_space:  global
        .offset:         88
        .size:           8
        .value_kind:     global_buffer
      - .actual_access:  write_only
        .address_space:  global
        .offset:         96
        .size:           8
        .value_kind:     global_buffer
    .group_segment_fixed_size: 0
    .kernarg_segment_align: 8
    .kernarg_segment_size: 104
    .language:       OpenCL C
    .language_version:
      - 2
      - 0
    .max_flat_workgroup_size: 170
    .name:           fft_rtc_back_len2040_factors_17_4_3_10_wgs_170_tpt_170_halfLds_sp_op_CI_CI_unitstride_sbrr_R2C_dirReg
    .private_segment_fixed_size: 0
    .sgpr_count:     66
    .sgpr_spill_count: 0
    .symbol:         fft_rtc_back_len2040_factors_17_4_3_10_wgs_170_tpt_170_halfLds_sp_op_CI_CI_unitstride_sbrr_R2C_dirReg.kd
    .uniform_work_group_size: 1
    .uses_dynamic_stack: false
    .vgpr_count:     262
    .vgpr_spill_count: 0
    .wavefront_size: 64
amdhsa.target:   amdgcn-amd-amdhsa--gfx950
amdhsa.version:
  - 1
  - 2
...

	.end_amdgpu_metadata
